;; amdgpu-corpus repo=ROCm/rocFFT kind=compiled arch=gfx1201 opt=O3
	.text
	.amdgcn_target "amdgcn-amd-amdhsa--gfx1201"
	.amdhsa_code_object_version 6
	.protected	fft_rtc_fwd_len1440_factors_10_16_3_3_wgs_90_tpt_90_halfLds_sp_op_CI_CI_sbrr_dirReg ; -- Begin function fft_rtc_fwd_len1440_factors_10_16_3_3_wgs_90_tpt_90_halfLds_sp_op_CI_CI_sbrr_dirReg
	.globl	fft_rtc_fwd_len1440_factors_10_16_3_3_wgs_90_tpt_90_halfLds_sp_op_CI_CI_sbrr_dirReg
	.p2align	8
	.type	fft_rtc_fwd_len1440_factors_10_16_3_3_wgs_90_tpt_90_halfLds_sp_op_CI_CI_sbrr_dirReg,@function
fft_rtc_fwd_len1440_factors_10_16_3_3_wgs_90_tpt_90_halfLds_sp_op_CI_CI_sbrr_dirReg: ; @fft_rtc_fwd_len1440_factors_10_16_3_3_wgs_90_tpt_90_halfLds_sp_op_CI_CI_sbrr_dirReg
; %bb.0:
	s_clause 0x2
	s_load_b128 s[12:15], s[0:1], 0x18
	s_load_b128 s[4:7], s[0:1], 0x0
	;; [unrolled: 1-line block ×3, first 2 shown]
	v_mul_u32_u24_e32 v1, 0x2d9, v0
	v_mov_b32_e32 v8, 0
	v_mov_b32_e32 v9, 0
	s_wait_kmcnt 0x0
	s_load_b64 s[18:19], s[12:13], 0x0
	s_load_b64 s[16:17], s[14:15], 0x0
	v_lshrrev_b32_e32 v2, 16, v1
	v_mov_b32_e32 v1, 0
	v_cmp_lt_u64_e64 s2, s[6:7], 2
	s_delay_alu instid0(VALU_DEP_2) | instskip(NEXT) | instid1(VALU_DEP_2)
	v_dual_mov_b32 v11, v1 :: v_dual_add_nc_u32 v10, ttmp9, v2
	s_and_b32 vcc_lo, exec_lo, s2
	s_cbranch_vccnz .LBB0_8
; %bb.1:
	s_load_b64 s[2:3], s[0:1], 0x10
	v_mov_b32_e32 v8, 0
	v_mov_b32_e32 v9, 0
	s_delay_alu instid0(VALU_DEP_2)
	v_mov_b32_e32 v4, v8
	s_add_nc_u64 s[20:21], s[14:15], 8
	s_add_nc_u64 s[22:23], s[12:13], 8
	s_mov_b64 s[24:25], 1
	v_mov_b32_e32 v5, v9
	s_wait_kmcnt 0x0
	s_add_nc_u64 s[26:27], s[2:3], 8
	s_mov_b32 s3, 0
.LBB0_2:                                ; =>This Inner Loop Header: Depth=1
	s_load_b64 s[28:29], s[26:27], 0x0
                                        ; implicit-def: $vgpr6_vgpr7
	s_mov_b32 s2, exec_lo
	s_wait_kmcnt 0x0
	v_or_b32_e32 v2, s29, v11
	s_delay_alu instid0(VALU_DEP_1)
	v_cmpx_ne_u64_e32 0, v[1:2]
	s_wait_alu 0xfffe
	s_xor_b32 s30, exec_lo, s2
	s_cbranch_execz .LBB0_4
; %bb.3:                                ;   in Loop: Header=BB0_2 Depth=1
	s_cvt_f32_u32 s2, s28
	s_cvt_f32_u32 s31, s29
	s_sub_nc_u64 s[36:37], 0, s[28:29]
	s_wait_alu 0xfffe
	s_delay_alu instid0(SALU_CYCLE_1) | instskip(SKIP_1) | instid1(SALU_CYCLE_2)
	s_fmamk_f32 s2, s31, 0x4f800000, s2
	s_wait_alu 0xfffe
	v_s_rcp_f32 s2, s2
	s_delay_alu instid0(TRANS32_DEP_1) | instskip(SKIP_1) | instid1(SALU_CYCLE_2)
	s_mul_f32 s2, s2, 0x5f7ffffc
	s_wait_alu 0xfffe
	s_mul_f32 s31, s2, 0x2f800000
	s_wait_alu 0xfffe
	s_delay_alu instid0(SALU_CYCLE_2) | instskip(SKIP_1) | instid1(SALU_CYCLE_2)
	s_trunc_f32 s31, s31
	s_wait_alu 0xfffe
	s_fmamk_f32 s2, s31, 0xcf800000, s2
	s_cvt_u32_f32 s35, s31
	s_wait_alu 0xfffe
	s_delay_alu instid0(SALU_CYCLE_1) | instskip(SKIP_1) | instid1(SALU_CYCLE_2)
	s_cvt_u32_f32 s34, s2
	s_wait_alu 0xfffe
	s_mul_u64 s[38:39], s[36:37], s[34:35]
	s_wait_alu 0xfffe
	s_mul_hi_u32 s41, s34, s39
	s_mul_i32 s40, s34, s39
	s_mul_hi_u32 s2, s34, s38
	s_mul_i32 s33, s35, s38
	s_wait_alu 0xfffe
	s_add_nc_u64 s[40:41], s[2:3], s[40:41]
	s_mul_hi_u32 s31, s35, s38
	s_mul_hi_u32 s42, s35, s39
	s_add_co_u32 s2, s40, s33
	s_wait_alu 0xfffe
	s_add_co_ci_u32 s2, s41, s31
	s_mul_i32 s38, s35, s39
	s_add_co_ci_u32 s39, s42, 0
	s_wait_alu 0xfffe
	s_add_nc_u64 s[38:39], s[2:3], s[38:39]
	s_wait_alu 0xfffe
	v_add_co_u32 v2, s2, s34, s38
	s_delay_alu instid0(VALU_DEP_1) | instskip(SKIP_1) | instid1(VALU_DEP_1)
	s_cmp_lg_u32 s2, 0
	s_add_co_ci_u32 s35, s35, s39
	v_readfirstlane_b32 s34, v2
	s_wait_alu 0xfffe
	s_delay_alu instid0(VALU_DEP_1)
	s_mul_u64 s[36:37], s[36:37], s[34:35]
	s_wait_alu 0xfffe
	s_mul_hi_u32 s39, s34, s37
	s_mul_i32 s38, s34, s37
	s_mul_hi_u32 s2, s34, s36
	s_mul_i32 s33, s35, s36
	s_wait_alu 0xfffe
	s_add_nc_u64 s[38:39], s[2:3], s[38:39]
	s_mul_hi_u32 s31, s35, s36
	s_mul_hi_u32 s34, s35, s37
	s_wait_alu 0xfffe
	s_add_co_u32 s2, s38, s33
	s_add_co_ci_u32 s2, s39, s31
	s_mul_i32 s36, s35, s37
	s_add_co_ci_u32 s37, s34, 0
	s_wait_alu 0xfffe
	s_add_nc_u64 s[36:37], s[2:3], s[36:37]
	s_wait_alu 0xfffe
	v_add_co_u32 v6, s2, v2, s36
	s_delay_alu instid0(VALU_DEP_1) | instskip(SKIP_1) | instid1(VALU_DEP_1)
	s_cmp_lg_u32 s2, 0
	s_add_co_ci_u32 s2, s35, s37
	v_mul_hi_u32 v14, v10, v6
	s_wait_alu 0xfffe
	v_mad_co_u64_u32 v[2:3], null, v10, s2, 0
	v_mad_co_u64_u32 v[6:7], null, v11, v6, 0
	;; [unrolled: 1-line block ×3, first 2 shown]
	s_delay_alu instid0(VALU_DEP_3) | instskip(SKIP_1) | instid1(VALU_DEP_4)
	v_add_co_u32 v2, vcc_lo, v14, v2
	s_wait_alu 0xfffd
	v_add_co_ci_u32_e32 v3, vcc_lo, 0, v3, vcc_lo
	s_delay_alu instid0(VALU_DEP_2) | instskip(SKIP_1) | instid1(VALU_DEP_2)
	v_add_co_u32 v2, vcc_lo, v2, v6
	s_wait_alu 0xfffd
	v_add_co_ci_u32_e32 v2, vcc_lo, v3, v7, vcc_lo
	s_wait_alu 0xfffd
	v_add_co_ci_u32_e32 v3, vcc_lo, 0, v13, vcc_lo
	s_delay_alu instid0(VALU_DEP_2) | instskip(SKIP_1) | instid1(VALU_DEP_2)
	v_add_co_u32 v6, vcc_lo, v2, v12
	s_wait_alu 0xfffd
	v_add_co_ci_u32_e32 v7, vcc_lo, 0, v3, vcc_lo
	s_delay_alu instid0(VALU_DEP_2) | instskip(SKIP_1) | instid1(VALU_DEP_3)
	v_mul_lo_u32 v12, s29, v6
	v_mad_co_u64_u32 v[2:3], null, s28, v6, 0
	v_mul_lo_u32 v13, s28, v7
	s_delay_alu instid0(VALU_DEP_2) | instskip(NEXT) | instid1(VALU_DEP_2)
	v_sub_co_u32 v2, vcc_lo, v10, v2
	v_add3_u32 v3, v3, v13, v12
	s_delay_alu instid0(VALU_DEP_1) | instskip(SKIP_1) | instid1(VALU_DEP_1)
	v_sub_nc_u32_e32 v12, v11, v3
	s_wait_alu 0xfffd
	v_subrev_co_ci_u32_e64 v12, s2, s29, v12, vcc_lo
	v_add_co_u32 v13, s2, v6, 2
	s_wait_alu 0xf1ff
	v_add_co_ci_u32_e64 v14, s2, 0, v7, s2
	v_sub_co_u32 v15, s2, v2, s28
	v_sub_co_ci_u32_e32 v3, vcc_lo, v11, v3, vcc_lo
	s_wait_alu 0xf1ff
	v_subrev_co_ci_u32_e64 v12, s2, 0, v12, s2
	s_delay_alu instid0(VALU_DEP_3) | instskip(NEXT) | instid1(VALU_DEP_3)
	v_cmp_le_u32_e32 vcc_lo, s28, v15
	v_cmp_eq_u32_e64 s2, s29, v3
	s_wait_alu 0xfffd
	v_cndmask_b32_e64 v15, 0, -1, vcc_lo
	v_cmp_le_u32_e32 vcc_lo, s29, v12
	s_wait_alu 0xfffd
	v_cndmask_b32_e64 v16, 0, -1, vcc_lo
	v_cmp_le_u32_e32 vcc_lo, s28, v2
	;; [unrolled: 3-line block ×3, first 2 shown]
	s_wait_alu 0xfffd
	v_cndmask_b32_e64 v17, 0, -1, vcc_lo
	v_cmp_eq_u32_e32 vcc_lo, s29, v12
	s_wait_alu 0xf1ff
	s_delay_alu instid0(VALU_DEP_2)
	v_cndmask_b32_e64 v2, v17, v2, s2
	s_wait_alu 0xfffd
	v_cndmask_b32_e32 v12, v16, v15, vcc_lo
	v_add_co_u32 v15, vcc_lo, v6, 1
	s_wait_alu 0xfffd
	v_add_co_ci_u32_e32 v16, vcc_lo, 0, v7, vcc_lo
	s_delay_alu instid0(VALU_DEP_3) | instskip(SKIP_1) | instid1(VALU_DEP_2)
	v_cmp_ne_u32_e32 vcc_lo, 0, v12
	s_wait_alu 0xfffd
	v_dual_cndmask_b32 v3, v16, v14 :: v_dual_cndmask_b32 v12, v15, v13
	v_cmp_ne_u32_e32 vcc_lo, 0, v2
	s_wait_alu 0xfffd
	s_delay_alu instid0(VALU_DEP_2)
	v_dual_cndmask_b32 v7, v7, v3 :: v_dual_cndmask_b32 v6, v6, v12
.LBB0_4:                                ;   in Loop: Header=BB0_2 Depth=1
	s_wait_alu 0xfffe
	s_and_not1_saveexec_b32 s2, s30
	s_cbranch_execz .LBB0_6
; %bb.5:                                ;   in Loop: Header=BB0_2 Depth=1
	v_cvt_f32_u32_e32 v2, s28
	s_sub_co_i32 s30, 0, s28
	s_delay_alu instid0(VALU_DEP_1) | instskip(NEXT) | instid1(TRANS32_DEP_1)
	v_rcp_iflag_f32_e32 v2, v2
	v_mul_f32_e32 v2, 0x4f7ffffe, v2
	s_delay_alu instid0(VALU_DEP_1) | instskip(SKIP_1) | instid1(VALU_DEP_1)
	v_cvt_u32_f32_e32 v2, v2
	s_wait_alu 0xfffe
	v_mul_lo_u32 v3, s30, v2
	s_delay_alu instid0(VALU_DEP_1) | instskip(NEXT) | instid1(VALU_DEP_1)
	v_mul_hi_u32 v3, v2, v3
	v_add_nc_u32_e32 v2, v2, v3
	s_delay_alu instid0(VALU_DEP_1) | instskip(NEXT) | instid1(VALU_DEP_1)
	v_mul_hi_u32 v2, v10, v2
	v_mul_lo_u32 v3, v2, s28
	v_add_nc_u32_e32 v6, 1, v2
	s_delay_alu instid0(VALU_DEP_2) | instskip(NEXT) | instid1(VALU_DEP_1)
	v_sub_nc_u32_e32 v3, v10, v3
	v_subrev_nc_u32_e32 v7, s28, v3
	v_cmp_le_u32_e32 vcc_lo, s28, v3
	s_wait_alu 0xfffd
	s_delay_alu instid0(VALU_DEP_2) | instskip(SKIP_1) | instid1(VALU_DEP_2)
	v_cndmask_b32_e32 v3, v3, v7, vcc_lo
	v_dual_mov_b32 v7, v1 :: v_dual_cndmask_b32 v2, v2, v6
	v_cmp_le_u32_e32 vcc_lo, s28, v3
	s_delay_alu instid0(VALU_DEP_2) | instskip(SKIP_1) | instid1(VALU_DEP_1)
	v_add_nc_u32_e32 v6, 1, v2
	s_wait_alu 0xfffd
	v_cndmask_b32_e32 v6, v2, v6, vcc_lo
.LBB0_6:                                ;   in Loop: Header=BB0_2 Depth=1
	s_wait_alu 0xfffe
	s_or_b32 exec_lo, exec_lo, s2
	v_mul_lo_u32 v12, v7, s28
	s_delay_alu instid0(VALU_DEP_2)
	v_mul_lo_u32 v13, v6, s29
	s_load_b64 s[30:31], s[22:23], 0x0
	v_mad_co_u64_u32 v[2:3], null, v6, s28, 0
	s_load_b64 s[28:29], s[20:21], 0x0
	s_add_nc_u64 s[24:25], s[24:25], 1
	s_add_nc_u64 s[20:21], s[20:21], 8
	s_wait_alu 0xfffe
	v_cmp_ge_u64_e64 s2, s[24:25], s[6:7]
	s_add_nc_u64 s[22:23], s[22:23], 8
	s_add_nc_u64 s[26:27], s[26:27], 8
	v_add3_u32 v3, v3, v13, v12
	v_sub_co_u32 v2, vcc_lo, v10, v2
	s_wait_alu 0xfffd
	s_delay_alu instid0(VALU_DEP_2) | instskip(SKIP_2) | instid1(VALU_DEP_1)
	v_sub_co_ci_u32_e32 v3, vcc_lo, v11, v3, vcc_lo
	s_and_b32 vcc_lo, exec_lo, s2
	s_wait_kmcnt 0x0
	v_mul_lo_u32 v10, s30, v3
	v_mul_lo_u32 v11, s31, v2
	v_mad_co_u64_u32 v[8:9], null, s30, v2, v[8:9]
	v_mul_lo_u32 v3, s28, v3
	v_mul_lo_u32 v12, s29, v2
	v_mad_co_u64_u32 v[4:5], null, s28, v2, v[4:5]
	s_delay_alu instid0(VALU_DEP_4) | instskip(NEXT) | instid1(VALU_DEP_2)
	v_add3_u32 v9, v11, v9, v10
	v_add3_u32 v5, v12, v5, v3
	s_wait_alu 0xfffe
	s_cbranch_vccnz .LBB0_9
; %bb.7:                                ;   in Loop: Header=BB0_2 Depth=1
	v_dual_mov_b32 v11, v7 :: v_dual_mov_b32 v10, v6
	s_branch .LBB0_2
.LBB0_8:
	v_dual_mov_b32 v4, v8 :: v_dual_mov_b32 v5, v9
	s_delay_alu instid0(VALU_DEP_2)
	v_dual_mov_b32 v6, v10 :: v_dual_mov_b32 v7, v11
.LBB0_9:
	s_load_b64 s[0:1], s[0:1], 0x28
	v_mul_hi_u32 v2, 0x2d82d83, v0
	s_lshl_b64 s[6:7], s[6:7], 3
                                        ; implicit-def: $vgpr48
	s_wait_alu 0xfffe
	s_add_nc_u64 s[2:3], s[14:15], s[6:7]
	s_wait_kmcnt 0x0
	v_cmp_gt_u64_e32 vcc_lo, s[0:1], v[6:7]
	v_cmp_le_u64_e64 s0, s[0:1], v[6:7]
	s_delay_alu instid0(VALU_DEP_1)
	s_and_saveexec_b32 s1, s0
	s_wait_alu 0xfffe
	s_xor_b32 s0, exec_lo, s1
; %bb.10:
	v_mul_u32_u24_e32 v1, 0x5a, v2
                                        ; implicit-def: $vgpr2
                                        ; implicit-def: $vgpr8_vgpr9
	s_delay_alu instid0(VALU_DEP_1)
	v_sub_nc_u32_e32 v48, v0, v1
                                        ; implicit-def: $vgpr0
; %bb.11:
	s_wait_alu 0xfffe
	s_or_saveexec_b32 s1, s0
	s_load_b64 s[2:3], s[2:3], 0x0
                                        ; implicit-def: $vgpr1
                                        ; implicit-def: $vgpr3
                                        ; implicit-def: $vgpr11
                                        ; implicit-def: $vgpr13
                                        ; implicit-def: $vgpr25
                                        ; implicit-def: $vgpr23
                                        ; implicit-def: $vgpr27
                                        ; implicit-def: $vgpr21
                                        ; implicit-def: $vgpr33
                                        ; implicit-def: $vgpr19
                                        ; implicit-def: $vgpr29
                                        ; implicit-def: $vgpr15
                                        ; implicit-def: $vgpr31
                                        ; implicit-def: $vgpr17
                                        ; implicit-def: $vgpr45
                                        ; implicit-def: $vgpr43
                                        ; implicit-def: $vgpr35
                                        ; implicit-def: $vgpr39
                                        ; implicit-def: $vgpr37
                                        ; implicit-def: $vgpr41
	s_xor_b32 exec_lo, exec_lo, s1
	s_cbranch_execz .LBB0_15
; %bb.12:
	v_mul_u32_u24_e32 v1, 0x5a, v2
	s_add_nc_u64 s[6:7], s[12:13], s[6:7]
                                        ; implicit-def: $vgpr40
                                        ; implicit-def: $vgpr36
                                        ; implicit-def: $vgpr38
                                        ; implicit-def: $vgpr42
                                        ; implicit-def: $vgpr44
	s_load_b64 s[6:7], s[6:7], 0x0
	s_delay_alu instid0(VALU_DEP_1) | instskip(SKIP_1) | instid1(VALU_DEP_2)
	v_sub_nc_u32_e32 v48, v0, v1
	v_lshlrev_b64_e32 v[0:1], 3, v[8:9]
	v_mad_co_u64_u32 v[2:3], null, s18, v48, 0
	v_add_nc_u32_e32 v23, 0x240, v48
	v_add_nc_u32_e32 v21, 0x120, v48
	v_add_nc_u32_e32 v28, 0x3f0, v48
	v_add_nc_u32_e32 v26, 0x360, v48
	v_mad_co_u64_u32 v[16:17], null, s19, v48, v[3:4]
	v_mad_co_u64_u32 v[17:18], null, s18, v23, 0
	v_add_nc_u32_e32 v19, 0x90, v48
	s_wait_kmcnt 0x0
	v_mul_lo_u32 v20, s7, v6
	v_mul_lo_u32 v24, s6, v7
	v_mad_co_u64_u32 v[8:9], null, s6, v6, 0
	v_mad_co_u64_u32 v[10:11], null, s18, v19, 0
	v_add_nc_u32_e32 v22, 0x1b0, v48
	v_mad_co_u64_u32 v[12:13], null, s18, v21, 0
	s_mov_b32 s6, exec_lo
	s_delay_alu instid0(VALU_DEP_4) | instskip(NEXT) | instid1(VALU_DEP_4)
	v_add3_u32 v9, v9, v24, v20
	v_mov_b32_e32 v3, v11
	v_mad_co_u64_u32 v[14:15], null, s18, v22, 0
	s_delay_alu instid0(VALU_DEP_3) | instskip(SKIP_1) | instid1(VALU_DEP_4)
	v_lshlrev_b64_e32 v[8:9], 3, v[8:9]
	v_mov_b32_e32 v11, v13
	v_mad_co_u64_u32 v[19:20], null, s19, v19, v[3:4]
	v_mov_b32_e32 v3, v16
	v_mov_b32_e32 v13, v15
	v_add_co_u32 v8, s0, s8, v8
	v_mad_co_u64_u32 v[15:16], null, s19, v21, v[11:12]
	s_delay_alu instid0(VALU_DEP_3)
	v_mad_co_u64_u32 v[20:21], null, s19, v22, v[13:14]
	s_wait_alu 0xf1ff
	v_add_co_ci_u32_e64 v9, s0, s9, v9, s0
	v_mad_co_u64_u32 v[21:22], null, s18, v26, 0
	v_mov_b32_e32 v11, v19
	v_lshlrev_b64_e32 v[2:3], 3, v[2:3]
	v_add_co_u32 v8, s0, v8, v0
	s_wait_alu 0xf1ff
	v_add_co_ci_u32_e64 v9, s0, v9, v1, s0
	v_lshlrev_b64_e32 v[0:1], 3, v[10:11]
	s_delay_alu instid0(VALU_DEP_3) | instskip(SKIP_1) | instid1(VALU_DEP_3)
	v_add_co_u32 v2, s0, v8, v2
	s_wait_alu 0xf1ff
	v_add_co_ci_u32_e64 v3, s0, v9, v3, s0
	v_add_nc_u32_e32 v16, 0x2d0, v48
	s_delay_alu instid0(VALU_DEP_4) | instskip(SKIP_4) | instid1(VALU_DEP_3)
	v_add_co_u32 v10, s0, v8, v0
	v_dual_mov_b32 v0, v18 :: v_dual_mov_b32 v13, v15
	v_mov_b32_e32 v15, v20
	s_wait_alu 0xf1ff
	v_add_co_ci_u32_e64 v11, s0, v9, v1, s0
	v_mad_co_u64_u32 v[0:1], null, s19, v23, v[0:1]
	v_mad_co_u64_u32 v[19:20], null, s18, v16, 0
	v_lshlrev_b64_e32 v[14:15], 3, v[14:15]
	s_delay_alu instid0(VALU_DEP_3) | instskip(NEXT) | instid1(VALU_DEP_3)
	v_mov_b32_e32 v18, v0
	v_mov_b32_e32 v0, v20
	s_delay_alu instid0(VALU_DEP_1) | instskip(SKIP_1) | instid1(VALU_DEP_2)
	v_mad_co_u64_u32 v[23:24], null, s19, v16, v[0:1]
	v_mad_co_u64_u32 v[24:25], null, s18, v28, 0
	v_mov_b32_e32 v20, v23
	v_lshlrev_b64_e32 v[12:13], 3, v[12:13]
	v_or_b32_e32 v23, 0x480, v48
	s_delay_alu instid0(VALU_DEP_2) | instskip(SKIP_1) | instid1(VALU_DEP_3)
	v_add_co_u32 v12, s0, v8, v12
	s_wait_alu 0xf1ff
	v_add_co_ci_u32_e64 v13, s0, v9, v13, s0
	v_add_co_u32 v14, s0, v8, v14
	s_wait_alu 0xf1ff
	v_add_co_ci_u32_e64 v15, s0, v9, v15, s0
	s_clause 0x3
	global_load_b64 v[0:1], v[2:3], off
	global_load_b64 v[2:3], v[10:11], off
	;; [unrolled: 1-line block ×4, first 2 shown]
	v_lshlrev_b64_e32 v[15:16], 3, v[17:18]
	v_mov_b32_e32 v14, v22
	s_delay_alu instid0(VALU_DEP_1) | instskip(SKIP_4) | instid1(VALU_DEP_4)
	v_mad_co_u64_u32 v[17:18], null, s19, v26, v[14:15]
	v_mov_b32_e32 v14, v25
	v_mad_co_u64_u32 v[26:27], null, s18, v23, 0
	v_add_nc_u32_e32 v31, 0x510, v48
	v_lshlrev_b64_e32 v[18:19], 3, v[19:20]
	v_mad_co_u64_u32 v[28:29], null, s19, v28, v[14:15]
	v_add_co_u32 v14, s0, v8, v15
	s_wait_alu 0xf1ff
	v_add_co_ci_u32_e64 v15, s0, v9, v16, s0
	v_mov_b32_e32 v16, v27
	v_mad_co_u64_u32 v[29:30], null, s18, v31, 0
	v_dual_mov_b32 v22, v17 :: v_dual_mov_b32 v25, v28
	s_delay_alu instid0(VALU_DEP_3) | instskip(SKIP_1) | instid1(VALU_DEP_4)
	v_mad_co_u64_u32 v[16:17], null, s19, v23, v[16:17]
	v_add_co_u32 v18, s0, v8, v18
	v_mov_b32_e32 v17, v30
	s_delay_alu instid0(VALU_DEP_4)
	v_lshlrev_b64_e32 v[20:21], 3, v[21:22]
	s_wait_alu 0xf1ff
	v_add_co_ci_u32_e64 v19, s0, v9, v19, s0
	v_mov_b32_e32 v27, v16
	v_mad_co_u64_u32 v[22:23], null, s19, v31, v[17:18]
	v_lshlrev_b64_e32 v[23:24], 3, v[24:25]
	v_add_co_u32 v16, s0, v8, v20
	s_wait_alu 0xf1ff
	v_add_co_ci_u32_e64 v17, s0, v9, v21, s0
	v_lshlrev_b64_e32 v[20:21], 3, v[26:27]
	v_mov_b32_e32 v30, v22
	v_add_co_u32 v31, s0, v8, v23
	s_wait_alu 0xf1ff
	v_add_co_ci_u32_e64 v32, s0, v9, v24, s0
	s_delay_alu instid0(VALU_DEP_3) | instskip(SKIP_3) | instid1(VALU_DEP_3)
	v_lshlrev_b64_e32 v[22:23], 3, v[29:30]
	v_add_co_u32 v28, s0, v8, v20
	s_wait_alu 0xf1ff
	v_add_co_ci_u32_e64 v29, s0, v9, v21, s0
                                        ; implicit-def: $vgpr30
	v_add_co_u32 v34, s0, v8, v22
	s_wait_alu 0xf1ff
	v_add_co_ci_u32_e64 v35, s0, v9, v23, s0
	s_clause 0x5
	global_load_b64 v[24:25], v[14:15], off
	global_load_b64 v[22:23], v[18:19], off
	;; [unrolled: 1-line block ×6, first 2 shown]
                                        ; implicit-def: $vgpr34
                                        ; implicit-def: $vgpr16
                                        ; implicit-def: $vgpr14
                                        ; implicit-def: $vgpr28
	v_cmpx_gt_u32_e32 54, v48
	s_cbranch_execz .LBB0_14
; %bb.13:
	v_add_nc_u32_e32 v47, 0x3ba, v48
	v_add_nc_u32_e32 v38, 0x20a, v48
	;; [unrolled: 1-line block ×5, first 2 shown]
	v_mad_co_u64_u32 v[42:43], null, s18, v47, 0
	v_add_nc_u32_e32 v37, 0x17a, v48
	v_mad_co_u64_u32 v[30:31], null, s18, v38, 0
	v_add_nc_u32_e32 v36, 0xea, v48
	s_delay_alu instid0(VALU_DEP_3) | instskip(SKIP_1) | instid1(VALU_DEP_3)
	v_mad_co_u64_u32 v[28:29], null, s18, v37, 0
	v_add_nc_u32_e32 v34, 0x5a, v48
	v_mad_co_u64_u32 v[16:17], null, s18, v36, 0
	s_delay_alu instid0(VALU_DEP_2) | instskip(NEXT) | instid1(VALU_DEP_1)
	v_mad_co_u64_u32 v[14:15], null, s18, v34, 0
	v_mad_co_u64_u32 v[34:35], null, s19, v34, v[15:16]
	v_mov_b32_e32 v15, v29
	v_mov_b32_e32 v29, v31
	s_wait_loadcnt 0x0
	v_mad_co_u64_u32 v[35:36], null, s19, v36, v[17:18]
	s_delay_alu instid0(VALU_DEP_3) | instskip(SKIP_2) | instid1(VALU_DEP_4)
	v_mad_co_u64_u32 v[36:37], null, s19, v37, v[15:16]
	v_mov_b32_e32 v15, v34
	v_mad_co_u64_u32 v[37:38], null, s19, v38, v[29:30]
	v_dual_mov_b32 v17, v35 :: v_dual_add_nc_u32 v38, 0x29a, v48
	s_delay_alu instid0(VALU_DEP_3) | instskip(SKIP_1) | instid1(VALU_DEP_3)
	v_lshlrev_b64_e32 v[14:15], 3, v[14:15]
	v_mov_b32_e32 v29, v36
	v_mad_co_u64_u32 v[34:35], null, s18, v38, 0
	s_delay_alu instid0(VALU_DEP_4)
	v_lshlrev_b64_e32 v[16:17], 3, v[16:17]
	v_mov_b32_e32 v31, v37
	v_add_co_u32 v14, s0, v8, v14
	v_lshlrev_b64_e32 v[28:29], 3, v[28:29]
	s_wait_alu 0xf1ff
	v_add_co_ci_u32_e64 v15, s0, v9, v15, s0
	v_mad_co_u64_u32 v[35:36], null, s19, v38, v[35:36]
	v_mad_co_u64_u32 v[36:37], null, s18, v44, 0
	v_add_co_u32 v16, s0, v8, v16
	s_wait_alu 0xf1ff
	v_add_co_ci_u32_e64 v17, s0, v9, v17, s0
	v_add_co_u32 v38, s0, v8, v28
	s_delay_alu instid0(VALU_DEP_4)
	v_mov_b32_e32 v28, v37
	v_lshlrev_b64_e32 v[30:31], 3, v[30:31]
	s_wait_alu 0xf1ff
	v_add_co_ci_u32_e64 v39, s0, v9, v29, s0
	v_lshlrev_b64_e32 v[34:35], 3, v[34:35]
	v_mad_co_u64_u32 v[44:45], null, s19, v44, v[28:29]
	s_delay_alu instid0(VALU_DEP_4) | instskip(SKIP_3) | instid1(VALU_DEP_4)
	v_add_co_u32 v40, s0, v8, v30
	s_wait_alu 0xf1ff
	v_add_co_ci_u32_e64 v41, s0, v9, v31, s0
	v_mad_co_u64_u32 v[45:46], null, s18, v49, 0
	v_dual_mov_b32 v37, v44 :: v_dual_add_nc_u32 v44, 0x4da, v48
	s_clause 0x3
	global_load_b64 v[28:29], v[14:15], off
	global_load_b64 v[14:15], v[16:17], off
	;; [unrolled: 1-line block ×4, first 2 shown]
	v_mov_b32_e32 v38, v43
	v_add_co_u32 v34, s0, v8, v34
	v_mad_co_u64_u32 v[40:41], null, s18, v44, 0
	s_delay_alu instid0(VALU_DEP_3) | instskip(SKIP_4) | instid1(VALU_DEP_3)
	v_mad_co_u64_u32 v[38:39], null, s19, v47, v[38:39]
	v_mov_b32_e32 v39, v46
	v_lshlrev_b64_e32 v[36:37], 3, v[36:37]
	s_wait_alu 0xf1ff
	v_add_co_ci_u32_e64 v35, s0, v9, v35, s0
	v_mad_co_u64_u32 v[46:47], null, s19, v49, v[39:40]
	v_mad_co_u64_u32 v[49:50], null, s18, v51, 0
	v_mov_b32_e32 v39, v41
	v_mov_b32_e32 v43, v38
	v_add_co_u32 v36, s0, v8, v36
	s_wait_alu 0xf1ff
	v_add_co_ci_u32_e64 v37, s0, v9, v37, s0
	v_mad_co_u64_u32 v[38:39], null, s19, v44, v[39:40]
	v_mov_b32_e32 v39, v50
	v_lshlrev_b64_e32 v[42:43], 3, v[42:43]
	v_lshlrev_b64_e32 v[44:45], 3, v[45:46]
	s_delay_alu instid0(VALU_DEP_3) | instskip(SKIP_1) | instid1(VALU_DEP_4)
	v_mad_co_u64_u32 v[50:51], null, s19, v51, v[39:40]
	v_mov_b32_e32 v41, v38
	v_add_co_u32 v38, s0, v8, v42
	s_wait_alu 0xf1ff
	v_add_co_ci_u32_e64 v39, s0, v9, v43, s0
	s_delay_alu instid0(VALU_DEP_3) | instskip(SKIP_4) | instid1(VALU_DEP_4)
	v_lshlrev_b64_e32 v[40:41], 3, v[40:41]
	v_add_co_u32 v42, s0, v8, v44
	s_wait_alu 0xf1ff
	v_add_co_ci_u32_e64 v43, s0, v9, v45, s0
	v_lshlrev_b64_e32 v[44:45], 3, v[49:50]
	v_add_co_u32 v46, s0, v8, v40
	s_wait_alu 0xf1ff
	v_add_co_ci_u32_e64 v47, s0, v9, v41, s0
	s_delay_alu instid0(VALU_DEP_3)
	v_add_co_u32 v8, s0, v8, v44
	s_wait_alu 0xf1ff
	v_add_co_ci_u32_e64 v9, s0, v9, v45, s0
	s_clause 0x5
	global_load_b64 v[44:45], v[34:35], off
	global_load_b64 v[40:41], v[36:37], off
	;; [unrolled: 1-line block ×6, first 2 shown]
.LBB0_14:
	s_wait_alu 0xfffe
	s_or_b32 exec_lo, exec_lo, s6
.LBB0_15:
	s_delay_alu instid0(SALU_CYCLE_1) | instskip(SKIP_4) | instid1(VALU_DEP_3)
	s_or_b32 exec_lo, exec_lo, s1
	s_wait_loadcnt 0x1
	v_dual_add_f32 v8, v24, v26 :: v_dual_sub_f32 v49, v11, v33
	v_dual_add_f32 v9, v0, v10 :: v_dual_sub_f32 v46, v10, v24
	v_dual_sub_f32 v47, v25, v27 :: v_dual_sub_f32 v50, v32, v26
	v_fma_f32 v8, -0.5, v8, v0
	v_add_f32_e32 v51, v10, v32
	s_delay_alu instid0(VALU_DEP_4)
	v_dual_add_f32 v9, v9, v24 :: v_dual_sub_f32 v78, v40, v38
	s_wait_loadcnt 0x0
	v_sub_f32_e32 v66, v39, v43
	v_fmamk_f32 v52, v49, 0x3f737871, v8
	v_fmac_f32_e32 v8, 0xbf737871, v49
	v_dual_fmac_f32 v0, -0.5, v51 :: v_dual_add_f32 v9, v9, v26
	v_add_f32_e32 v46, v46, v50
	s_delay_alu instid0(VALU_DEP_4) | instskip(NEXT) | instid1(VALU_DEP_4)
	v_fmac_f32_e32 v52, 0x3f167918, v47
	v_dual_fmac_f32 v8, 0xbf167918, v47 :: v_dual_sub_f32 v51, v24, v10
	s_delay_alu instid0(VALU_DEP_4) | instskip(NEXT) | instid1(VALU_DEP_3)
	v_dual_fmamk_f32 v53, v47, 0xbf737871, v0 :: v_dual_add_f32 v50, v22, v20
	v_dual_add_f32 v9, v9, v32 :: v_dual_fmac_f32 v52, 0x3e9e377a, v46
	s_delay_alu instid0(VALU_DEP_3) | instskip(NEXT) | instid1(VALU_DEP_3)
	v_dual_add_f32 v55, v2, v12 :: v_dual_fmac_f32 v8, 0x3e9e377a, v46
	v_fmac_f32_e32 v53, 0x3f167918, v49
	s_delay_alu instid0(VALU_DEP_4) | instskip(SKIP_4) | instid1(VALU_DEP_4)
	v_fma_f32 v46, -0.5, v50, v2
	v_sub_f32_e32 v50, v13, v19
	v_dual_fmac_f32 v0, 0x3f737871, v47 :: v_dual_sub_f32 v57, v18, v20
	v_sub_f32_e32 v56, v12, v22
	v_cmp_gt_u32_e64 s0, 54, v48
	v_fmamk_f32 v47, v50, 0x3f737871, v46
	v_dual_sub_f32 v54, v26, v32 :: v_dual_sub_f32 v59, v12, v18
	v_dual_sub_f32 v58, v20, v18 :: v_dual_sub_f32 v63, v45, v37
	v_sub_f32_e32 v67, v17, v41
	s_delay_alu instid0(VALU_DEP_3)
	v_add_f32_e32 v51, v51, v54
	v_add_f32_e32 v54, v55, v22
	v_sub_f32_e32 v55, v23, v21
	v_add_f32_e32 v56, v56, v57
	v_fmac_f32_e32 v46, 0xbf737871, v50
	v_fmac_f32_e32 v53, 0x3e9e377a, v51
	v_dual_fmac_f32 v0, 0xbf167918, v49 :: v_dual_add_f32 v49, v54, v20
	v_dual_fmac_f32 v47, 0x3f167918, v55 :: v_dual_add_f32 v54, v12, v18
	s_delay_alu instid0(VALU_DEP_2) | instskip(SKIP_1) | instid1(VALU_DEP_3)
	v_dual_sub_f32 v57, v22, v12 :: v_dual_fmac_f32 v0, 0x3e9e377a, v51
	v_fmac_f32_e32 v46, 0xbf167918, v55
	v_dual_fmac_f32 v47, 0x3e9e377a, v56 :: v_dual_fmac_f32 v2, -0.5, v54
	s_delay_alu instid0(VALU_DEP_3) | instskip(SKIP_2) | instid1(VALU_DEP_4)
	v_add_f32_e32 v57, v57, v58
	v_sub_f32_e32 v58, v21, v19
	v_sub_f32_e32 v79, v43, v39
	v_fmamk_f32 v51, v55, 0xbf737871, v2
	v_dual_fmac_f32 v2, 0x3f737871, v55 :: v_dual_sub_f32 v55, v19, v21
	s_delay_alu instid0(VALU_DEP_3) | instskip(NEXT) | instid1(VALU_DEP_3)
	v_add_f32_e32 v79, v79, v67
	v_fmac_f32_e32 v51, 0x3f167918, v50
	v_add_f32_e32 v54, v49, v18
	v_dual_add_f32 v18, v13, v19 :: v_dual_add_f32 v49, v23, v21
	v_fmac_f32_e32 v2, 0xbf167918, v50
	s_delay_alu instid0(VALU_DEP_4) | instskip(NEXT) | instid1(VALU_DEP_3)
	v_dual_fmac_f32 v51, 0x3e9e377a, v57 :: v_dual_sub_f32 v22, v22, v20
	v_fma_f32 v18, -0.5, v18, v3
	v_sub_f32_e32 v50, v13, v23
	v_fma_f32 v49, -0.5, v49, v3
	v_sub_f32_e32 v73, v9, v54
	v_add_f32_e32 v68, v9, v54
	v_fmamk_f32 v20, v22, 0x3f737871, v18
	v_fmac_f32_e32 v18, 0xbf737871, v22
	v_add_f32_e32 v50, v50, v55
	v_fmac_f32_e32 v46, 0x3e9e377a, v56
	v_sub_f32_e32 v56, v23, v13
	v_fmac_f32_e32 v20, 0xbf167918, v59
	v_dual_fmac_f32 v18, 0x3f167918, v59 :: v_dual_add_f32 v9, v30, v34
	s_delay_alu instid0(VALU_DEP_3) | instskip(SKIP_2) | instid1(VALU_DEP_4)
	v_dual_fmamk_f32 v12, v59, 0xbf737871, v49 :: v_dual_add_f32 v55, v56, v58
	v_fmac_f32_e32 v49, 0x3f737871, v59
	v_dual_fmac_f32 v2, 0x3e9e377a, v57 :: v_dual_add_f32 v57, v44, v36
	v_fma_f32 v61, -0.5, v9, v28
	s_delay_alu instid0(VALU_DEP_4)
	v_fmac_f32_e32 v20, 0x3e9e377a, v55
	v_fmac_f32_e32 v18, 0x3e9e377a, v55
	v_mul_f32_e32 v55, 0x3e9e377a, v51
	v_fmac_f32_e32 v12, 0xbf167918, v22
	v_fmac_f32_e32 v49, 0x3f167918, v22
	v_fma_f32 v59, -0.5, v57, v28
	v_add_f32_e32 v57, v39, v41
	s_delay_alu instid0(VALU_DEP_4) | instskip(NEXT) | instid1(VALU_DEP_4)
	v_dual_sub_f32 v9, v34, v36 :: v_dual_fmac_f32 v12, 0x3e9e377a, v50
	v_fmac_f32_e32 v49, 0x3e9e377a, v50
	v_mul_f32_e32 v50, 0x3f4f1bbd, v46
	v_sub_f32_e32 v54, v42, v38
	v_fmamk_f32 v60, v63, 0xbf737871, v61
	s_delay_alu instid0(VALU_DEP_3) | instskip(NEXT) | instid1(VALU_DEP_1)
	v_fma_f32 v50, 0x3f167918, v49, -v50
	v_add_f32_e32 v72, v8, v50
	v_dual_sub_f32 v77, v8, v50 :: v_dual_sub_f32 v8, v30, v44
	v_add_f32_e32 v50, v16, v42
	s_delay_alu instid0(VALU_DEP_2) | instskip(SKIP_4) | instid1(VALU_DEP_3)
	v_add_f32_e32 v64, v8, v9
	v_sub_f32_e32 v9, v36, v34
	v_dual_fmac_f32 v55, 0x3f737871, v20 :: v_dual_sub_f32 v8, v44, v30
	v_mul_f32_e32 v22, 0x3f167918, v12
	v_fma_f32 v50, -0.5, v50, v14
	v_add_f32_e32 v70, v53, v55
	v_sub_f32_e32 v75, v53, v55
	v_dual_sub_f32 v55, v17, v43 :: v_dual_mul_f32 v56, 0x3e9e377a, v2
	v_sub_f32_e32 v53, v16, v40
	v_add_f32_e32 v65, v8, v9
	v_add_f32_e32 v9, v17, v43
	v_fmac_f32_e32 v22, 0x3f4f1bbd, v47
	v_fma_f32 v56, 0x3f737871, v18, -v56
	v_add_f32_e32 v8, v54, v53
	s_delay_alu instid0(VALU_DEP_4) | instskip(SKIP_1) | instid1(VALU_DEP_4)
	v_fma_f32 v53, -0.5, v9, v15
	v_sub_f32_e32 v9, v16, v42
	v_add_f32_e32 v71, v0, v56
	v_sub_f32_e32 v76, v0, v56
	v_dual_add_f32 v0, v38, v40 :: v_dual_add_f32 v69, v52, v22
	v_sub_f32_e32 v74, v52, v22
	v_sub_f32_e32 v52, v41, v39
	;; [unrolled: 1-line block ×3, first 2 shown]
	s_delay_alu instid0(VALU_DEP_4) | instskip(NEXT) | instid1(VALU_DEP_3)
	v_fma_f32 v0, -0.5, v0, v14
	v_fmamk_f32 v54, v52, 0xbf737871, v50
	v_fmac_f32_e32 v50, 0x3f737871, v52
	s_delay_alu instid0(VALU_DEP_3) | instskip(SKIP_1) | instid1(VALU_DEP_4)
	v_fmamk_f32 v22, v55, 0x3f737871, v0
	v_fmac_f32_e32 v0, 0xbf737871, v55
	v_fmac_f32_e32 v54, 0x3f167918, v55
	s_delay_alu instid0(VALU_DEP_4) | instskip(NEXT) | instid1(VALU_DEP_4)
	v_fmac_f32_e32 v50, 0xbf167918, v55
	v_fmac_f32_e32 v22, 0x3f167918, v52
	s_delay_alu instid0(VALU_DEP_4) | instskip(SKIP_2) | instid1(VALU_DEP_4)
	v_fmac_f32_e32 v0, 0xbf167918, v52
	v_fma_f32 v52, -0.5, v57, v15
	v_fmamk_f32 v55, v78, 0x3f737871, v53
	v_dual_sub_f32 v57, v41, v17 :: v_dual_fmac_f32 v22, 0x3e9e377a, v8
	s_delay_alu instid0(VALU_DEP_4) | instskip(SKIP_1) | instid1(VALU_DEP_3)
	v_fmac_f32_e32 v0, 0x3e9e377a, v8
	v_sub_f32_e32 v8, v40, v16
	v_dual_sub_f32 v62, v31, v35 :: v_dual_add_f32 v57, v66, v57
	v_fmac_f32_e32 v55, 0xbf167918, v9
	s_delay_alu instid0(VALU_DEP_3) | instskip(SKIP_1) | instid1(VALU_DEP_4)
	v_dual_fmac_f32 v53, 0xbf737871, v78 :: v_dual_add_f32 v8, v56, v8
	v_fmamk_f32 v56, v9, 0xbf737871, v52
	v_fmamk_f32 v58, v62, 0x3f737871, v59
	s_delay_alu instid0(VALU_DEP_4)
	v_fmac_f32_e32 v55, 0x3e9e377a, v57
	v_fmac_f32_e32 v60, 0x3f167918, v62
	;; [unrolled: 1-line block ×4, first 2 shown]
	v_dual_fmac_f32 v58, 0x3f167918, v63 :: v_dual_fmac_f32 v53, 0x3f167918, v9
	v_fmac_f32_e32 v52, 0x3f737871, v9
	v_mul_f32_e32 v66, 0x3f4f1bbd, v22
	s_delay_alu instid0(VALU_DEP_4)
	v_fmac_f32_e32 v56, 0x3e9e377a, v79
	v_mul_f32_e32 v67, 0x3f737871, v55
	v_fmac_f32_e32 v58, 0x3e9e377a, v64
	v_fmac_f32_e32 v60, 0x3e9e377a, v65
	;; [unrolled: 1-line block ×4, first 2 shown]
	v_mul_u32_u24_e32 v8, 10, v48
	v_fmac_f32_e32 v66, 0x3f167918, v56
	v_fmac_f32_e32 v67, 0x3e9e377a, v54
	s_delay_alu instid0(VALU_DEP_4) | instskip(NEXT) | instid1(VALU_DEP_4)
	v_dual_fmac_f32 v53, 0x3e9e377a, v57 :: v_dual_fmac_f32 v52, 0x3e9e377a, v79
	v_lshl_add_u32 v57, v8, 2, 0
	s_delay_alu instid0(VALU_DEP_3)
	v_dual_sub_f32 v8, v58, v66 :: v_dual_sub_f32 v9, v60, v67
	ds_store_2addr_b64 v57, v[68:69], v[70:71] offset1:1
	ds_store_2addr_b64 v57, v[72:73], v[74:75] offset0:2 offset1:3
	ds_store_b64 v57, v[76:77] offset:32
	s_and_saveexec_b32 s1, s0
	s_cbranch_execz .LBB0_17
; %bb.16:
	v_mul_f32_e32 v68, 0x3f737871, v62
	v_dual_mul_f32 v69, 0x3f167918, v63 :: v_dual_add_f32 v28, v28, v30
	v_dual_mul_f32 v63, 0x3f737871, v63 :: v_dual_add_f32 v14, v14, v16
	s_delay_alu instid0(VALU_DEP_3) | instskip(SKIP_2) | instid1(VALU_DEP_3)
	v_dual_sub_f32 v59, v59, v68 :: v_dual_mul_f32 v16, 0x3f167918, v62
	v_mul_f32_e32 v64, 0x3e9e377a, v64
	v_mul_f32_e32 v62, 0x3e9e377a, v65
	v_dual_add_f32 v14, v14, v40 :: v_dual_sub_f32 v59, v59, v69
	v_dual_add_f32 v40, v61, v63 :: v_dual_mul_f32 v61, 0xbf4f1bbd, v0
	s_delay_alu instid0(VALU_DEP_2) | instskip(NEXT) | instid1(VALU_DEP_2)
	v_dual_add_f32 v66, v58, v66 :: v_dual_add_f32 v63, v64, v59
	v_sub_f32_e32 v16, v40, v16
	s_delay_alu instid0(VALU_DEP_3) | instskip(NEXT) | instid1(VALU_DEP_1)
	v_fmac_f32_e32 v61, 0x3f167918, v52
	v_dual_add_f32 v28, v28, v44 :: v_dual_sub_f32 v59, v63, v61
	s_delay_alu instid0(VALU_DEP_1) | instskip(SKIP_2) | instid1(VALU_DEP_3)
	v_dual_add_f32 v28, v28, v36 :: v_dual_add_f32 v61, v63, v61
	v_add_f32_e32 v14, v38, v14
	v_dual_mul_f32 v38, 0xbe9e377a, v50 :: v_dual_add_f32 v63, v60, v67
	v_add_f32_e32 v28, v34, v28
	s_delay_alu instid0(VALU_DEP_3) | instskip(SKIP_1) | instid1(VALU_DEP_2)
	v_add_f32_e32 v14, v42, v14
	v_add_f32_e32 v16, v62, v16
	v_dual_fmac_f32 v38, 0x3f737871, v53 :: v_dual_add_f32 v65, v28, v14
	v_sub_f32_e32 v62, v28, v14
	v_add_nc_u32_e32 v14, 0xe20, v57
	s_delay_alu instid0(VALU_DEP_3)
	v_add_f32_e32 v64, v16, v38
	v_add_nc_u32_e32 v28, 0xe10, v57
	v_sub_f32_e32 v58, v16, v38
	ds_store_2addr_b64 v14, v[61:62], v[8:9] offset1:1
	ds_store_2addr_b64 v28, v[65:66], v[63:64] offset1:1
	ds_store_b64 v57, v[58:59] offset:3632
.LBB0_17:
	s_wait_alu 0xfffe
	s_or_b32 exec_lo, exec_lo, s1
	v_dual_add_f32 v16, v25, v27 :: v_dual_add_f32 v3, v3, v13
	v_sub_f32_e32 v28, v11, v25
	v_sub_f32_e32 v58, v30, v34
	v_mul_f32_e32 v70, 0xbf737871, v51
	s_delay_alu instid0(VALU_DEP_4)
	v_fma_f32 v42, -0.5, v16, v1
	v_dual_sub_f32 v16, v33, v27 :: v_dual_sub_f32 v13, v27, v33
	v_sub_f32_e32 v24, v24, v26
	v_sub_f32_e32 v10, v10, v32
	v_add_f32_e32 v32, v11, v33
	v_add_f32_e32 v14, v1, v11
	v_sub_f32_e32 v11, v25, v11
	v_dual_add_f32 v3, v3, v23 :: v_dual_mul_f32 v54, 0xbf737871, v54
	s_delay_alu instid0(VALU_DEP_3) | instskip(NEXT) | instid1(VALU_DEP_3)
	v_dual_fmac_f32 v1, -0.5, v32 :: v_dual_add_f32 v14, v14, v25
	v_add_f32_e32 v11, v11, v13
	s_delay_alu instid0(VALU_DEP_3) | instskip(NEXT) | instid1(VALU_DEP_3)
	v_dual_add_f32 v3, v3, v21 :: v_dual_fmac_f32 v54, 0x3e9e377a, v55
	v_dual_fmamk_f32 v69, v24, 0x3f737871, v1 :: v_dual_add_f32 v14, v14, v27
	v_dual_fmac_f32 v1, 0xbf737871, v24 :: v_dual_fmamk_f32 v68, v10, 0xbf737871, v42
	s_delay_alu instid0(VALU_DEP_2) | instskip(NEXT) | instid1(VALU_DEP_4)
	v_dual_add_f32 v16, v28, v16 :: v_dual_fmac_f32 v69, 0xbf167918, v10
	v_dual_fmac_f32 v42, 0x3f737871, v10 :: v_dual_add_f32 v3, v3, v19
	s_delay_alu instid0(VALU_DEP_3) | instskip(NEXT) | instid1(VALU_DEP_3)
	v_dual_fmac_f32 v1, 0x3f167918, v10 :: v_dual_add_f32 v14, v14, v33
	v_fmac_f32_e32 v69, 0x3e9e377a, v11
	v_dual_mul_f32 v59, 0xbf167918, v22 :: v_dual_sub_f32 v36, v44, v36
	s_delay_alu instid0(VALU_DEP_3) | instskip(NEXT) | instid1(VALU_DEP_4)
	v_fmac_f32_e32 v1, 0x3e9e377a, v11
	v_dual_mul_f32 v11, 0x3e9e377a, v18 :: v_dual_add_f32 v62, v14, v3
	v_sub_f32_e32 v67, v14, v3
	v_sub_f32_e32 v14, v45, v31
	global_wb scope:SCOPE_SE
	s_wait_dscnt 0x0
	v_fma_f32 v11, 0xbf737871, v2, -v11
	v_add_f32_e32 v2, v45, v37
	v_fmac_f32_e32 v68, 0xbf167918, v24
	s_wait_kmcnt 0x0
	s_barrier_signal -1
	s_barrier_wait -1
	v_add_f32_e32 v65, v1, v11
	v_fma_f32 v51, -0.5, v2, v29
	v_fmac_f32_e32 v68, 0x3e9e377a, v16
	global_inv scope:SCOPE_SE
	v_sub_f32_e32 v13, v35, v37
	v_fmac_f32_e32 v59, 0x3f4f1bbd, v56
	v_fmamk_f32 v3, v58, 0xbf737871, v51
	v_mul_f32_e32 v10, 0xbf167918, v47
	v_dual_fmac_f32 v70, 0x3e9e377a, v20 :: v_dual_sub_f32 v55, v1, v11
	s_delay_alu instid0(VALU_DEP_3) | instskip(NEXT) | instid1(VALU_DEP_3)
	v_fmac_f32_e32 v3, 0xbf167918, v36
	v_fmac_f32_e32 v10, 0x3f4f1bbd, v12
	s_delay_alu instid0(VALU_DEP_3) | instskip(SKIP_1) | instid1(VALU_DEP_3)
	v_add_f32_e32 v64, v69, v70
	v_dual_sub_f32 v69, v69, v70 :: v_dual_fmac_f32 v42, 0x3f167918, v24
	v_add_f32_e32 v63, v68, v10
	v_sub_f32_e32 v68, v68, v10
	s_delay_alu instid0(VALU_DEP_3) | instskip(SKIP_3) | instid1(VALU_DEP_3)
	v_fmac_f32_e32 v42, 0x3e9e377a, v16
	v_sub_f32_e32 v16, v37, v35
	v_mul_f32_e32 v12, 0x3f4f1bbd, v49
	v_mad_i32_i24 v49, 0xffffffdc, v48, v57
	v_add_f32_e32 v61, v14, v16
	s_delay_alu instid0(VALU_DEP_3) | instskip(SKIP_1) | instid1(VALU_DEP_4)
	v_fma_f32 v71, 0xbf167918, v46, -v12
	v_add_f32_e32 v12, v31, v35
	v_add_nc_u32_e32 v30, 0x800, v49
	v_add_nc_u32_e32 v16, 0x200, v49
	;; [unrolled: 1-line block ×4, first 2 shown]
	v_fma_f32 v34, -0.5, v12, v29
	v_sub_f32_e32 v12, v31, v45
	v_add_nc_u32_e32 v28, 0xc00, v49
	v_add_nc_u32_e32 v44, 0x1000, v49
	;; [unrolled: 1-line block ×3, first 2 shown]
	ds_load_2addr_b32 v[18:19], v49 offset1:90
	ds_load_2addr_b32 v[46:47], v16 offset0:52 offset1:142
	ds_load_2addr_b32 v[24:25], v14 offset0:104 offset1:194
	v_add_f32_e32 v60, v12, v13
	ds_load_2addr_b32 v[32:33], v30 offset0:28 offset1:118
	ds_load_2addr_b32 v[12:13], v38 offset0:80 offset1:170
	;; [unrolled: 1-line block ×5, first 2 shown]
	v_fmamk_f32 v2, v36, 0x3f737871, v34
	v_add_f32_e32 v66, v42, v71
	v_dual_sub_f32 v56, v42, v71 :: v_dual_fmac_f32 v3, 0x3e9e377a, v60
	v_add_nc_u32_e32 v42, 0x5a, v48
	s_delay_alu instid0(VALU_DEP_4)
	v_fmac_f32_e32 v2, 0xbf167918, v58
	global_wb scope:SCOPE_SE
	s_wait_dscnt 0x0
	s_barrier_signal -1
	v_sub_f32_e32 v10, v3, v59
	s_barrier_wait -1
	v_fmac_f32_e32 v2, 0x3e9e377a, v61
	global_inv scope:SCOPE_SE
	ds_store_2addr_b64 v57, v[62:63], v[64:65] offset1:1
	ds_store_2addr_b64 v57, v[66:67], v[68:69] offset0:2 offset1:3
	ds_store_b64 v57, v[55:56] offset:32
	v_sub_f32_e32 v11, v2, v54
	s_and_saveexec_b32 s1, s0
	s_cbranch_execz .LBB0_19
; %bb.18:
	v_add_f32_e32 v15, v15, v17
	v_add_f32_e32 v1, v29, v31
	v_mul_f32_e32 v31, 0x3e9e377a, v60
	s_delay_alu instid0(VALU_DEP_3) | instskip(NEXT) | instid1(VALU_DEP_1)
	v_add_f32_e32 v15, v15, v41
	v_add_f32_e32 v15, v39, v15
	v_mul_u32_u24_e32 v39, 10, v42
	s_delay_alu instid0(VALU_DEP_2) | instskip(SKIP_2) | instid1(VALU_DEP_1)
	v_add_f32_e32 v15, v43, v15
	v_mul_f32_e32 v17, 0x3f167918, v36
	v_dual_mul_f32 v36, 0x3f737871, v36 :: v_dual_mul_f32 v29, 0x3f737871, v58
	v_dual_add_f32 v1, v1, v45 :: v_dual_sub_f32 v34, v34, v36
	s_delay_alu instid0(VALU_DEP_2) | instskip(NEXT) | instid1(VALU_DEP_2)
	v_add_f32_e32 v29, v29, v51
	v_add_f32_e32 v1, v1, v37
	v_mul_f32_e32 v37, 0xbf4f1bbd, v52
	v_mul_f32_e32 v36, 0x3e9e377a, v61
	s_delay_alu instid0(VALU_DEP_4) | instskip(NEXT) | instid1(VALU_DEP_4)
	v_add_f32_e32 v17, v17, v29
	v_add_f32_e32 v29, v35, v1
	s_delay_alu instid0(VALU_DEP_4) | instskip(SKIP_1) | instid1(VALU_DEP_4)
	v_fmamk_f32 v37, v0, 0xbf167918, v37
	v_dual_mul_f32 v35, 0xbe9e377a, v53 :: v_dual_add_f32 v0, v2, v54
	v_add_f32_e32 v17, v31, v17
	s_delay_alu instid0(VALU_DEP_1) | instskip(NEXT) | instid1(VALU_DEP_1)
	v_dual_mul_f32 v41, 0x3f167918, v58 :: v_dual_add_f32 v2, v17, v37
	v_add_f32_e32 v1, v41, v34
	v_add_f32_e32 v34, v29, v15
	v_sub_f32_e32 v37, v17, v37
	s_delay_alu instid0(VALU_DEP_3) | instskip(SKIP_3) | instid1(VALU_DEP_4)
	v_dual_add_f32 v31, v36, v1 :: v_dual_fmamk_f32 v36, v50, 0xbf737871, v35
	v_add_f32_e32 v35, v3, v59
	v_sub_f32_e32 v3, v29, v15
	v_lshl_add_u32 v15, v39, 2, 0
	v_add_f32_e32 v1, v31, v36
	v_sub_f32_e32 v36, v31, v36
	ds_store_2addr_b64 v15, v[34:35], v[0:1] offset1:1
	ds_store_2addr_b64 v15, v[2:3], v[10:11] offset0:2 offset1:3
	ds_store_b64 v15, v[36:37] offset:32
.LBB0_19:
	s_wait_alu 0xfffe
	s_or_b32 exec_lo, exec_lo, s1
	v_and_b32_e32 v0, 0xff, v48
	global_wb scope:SCOPE_SE
	s_wait_dscnt 0x0
	s_barrier_signal -1
	s_barrier_wait -1
	global_inv scope:SCOPE_SE
	v_mul_lo_u16 v0, 0xcd, v0
	v_cmp_gt_u32_e64 s0, 30, v48
	s_delay_alu instid0(VALU_DEP_2) | instskip(NEXT) | instid1(VALU_DEP_1)
	v_lshrrev_b16 v15, 11, v0
	v_mul_lo_u16 v0, v15, 10
	s_delay_alu instid0(VALU_DEP_1) | instskip(NEXT) | instid1(VALU_DEP_1)
	v_sub_nc_u16 v0, v48, v0
	v_and_b32_e32 v17, 0xff, v0
	s_delay_alu instid0(VALU_DEP_1) | instskip(NEXT) | instid1(VALU_DEP_1)
	v_mul_u32_u24_e32 v0, 15, v17
	v_lshlrev_b32_e32 v29, 3, v0
	s_clause 0x7
	global_load_b128 v[50:53], v29, s[4:5]
	global_load_b128 v[54:57], v29, s[4:5] offset:16
	global_load_b128 v[58:61], v29, s[4:5] offset:32
	global_load_b128 v[0:3], v29, s[4:5] offset:48
	global_load_b128 v[62:65], v29, s[4:5] offset:64
	global_load_b128 v[66:69], v29, s[4:5] offset:80
	global_load_b128 v[70:73], v29, s[4:5] offset:96
	global_load_b64 v[74:75], v29, s[4:5] offset:112
	ds_load_2addr_b32 v[76:77], v16 offset0:52 offset1:142
	ds_load_2addr_b32 v[34:35], v49 offset1:90
	ds_load_2addr_b32 v[78:79], v14 offset0:104 offset1:194
	ds_load_2addr_b32 v[80:81], v30 offset0:28 offset1:118
	;; [unrolled: 1-line block ×6, first 2 shown]
	v_add_nc_u32_e32 v39, 0xe00, v49
	global_wb scope:SCOPE_SE
	s_wait_loadcnt_dscnt 0x0
	s_barrier_signal -1
	s_barrier_wait -1
	global_inv scope:SCOPE_SE
	v_dual_mul_f32 v40, v46, v53 :: v_dual_and_b32 v15, 0xffff, v15
	v_mul_f32_e32 v31, v76, v53
	v_mul_f32_e32 v41, v24, v57
	;; [unrolled: 1-line block ×3, first 2 shown]
	s_delay_alu instid0(VALU_DEP_4) | instskip(SKIP_3) | instid1(VALU_DEP_3)
	v_fmac_f32_e32 v40, v76, v52
	v_mul_u32_u24_e32 v15, 0xa0, v15
	v_dual_mul_f32 v65, v26, v65 :: v_dual_mul_f32 v90, v29, v67
	v_dual_mul_f32 v53, v78, v57 :: v_dual_mul_f32 v88, v37, v63
	v_or_b32_e32 v15, v15, v17
	v_mul_f32_e32 v17, v19, v51
	s_delay_alu instid0(VALU_DEP_4) | instskip(SKIP_3) | instid1(VALU_DEP_4)
	v_fmac_f32_e32 v65, v28, v64
	v_mul_f32_e32 v63, v13, v63
	v_mul_f32_e32 v86, v81, v1
	v_lshl_add_u32 v43, v15, 2, 0
	v_dual_mul_f32 v15, v35, v51 :: v_dual_sub_f32 v28, v40, v65
	s_delay_alu instid0(VALU_DEP_4) | instskip(SKIP_2) | instid1(VALU_DEP_4)
	v_fmac_f32_e32 v63, v37, v62
	v_fma_f32 v37, v26, v64, -v89
	v_fma_f32 v13, v13, v62, -v88
	v_fma_f32 v15, v19, v50, -v15
	v_fma_f32 v19, v46, v52, -v31
	v_dual_mul_f32 v52, v20, v73 :: v_dual_fmac_f32 v17, v35, v50
	v_mul_f32_e32 v50, v23, v71
	v_mul_f32_e32 v45, v77, v55
	s_delay_alu instid0(VALU_DEP_3) | instskip(NEXT) | instid1(VALU_DEP_3)
	v_dual_mul_f32 v51, v47, v55 :: v_dual_fmac_f32 v52, v84, v72
	v_dual_mul_f32 v31, v82, v69 :: v_dual_fmac_f32 v50, v83, v70
	s_delay_alu instid0(VALU_DEP_3)
	v_fma_f32 v47, v47, v54, -v45
	v_mul_f32_e32 v45, v84, v73
	v_mul_f32_e32 v87, v36, v3
	v_dual_mul_f32 v35, v22, v69 :: v_dual_mul_f32 v46, v83, v71
	v_fma_f32 v24, v24, v56, -v53
	v_fma_f32 v22, v22, v68, -v31
	;; [unrolled: 1-line block ×3, first 2 shown]
	v_mul_f32_e32 v1, v33, v1
	v_mul_f32_e32 v57, v25, v59
	v_fma_f32 v53, v33, v0, -v86
	v_sub_f32_e32 v26, v24, v22
	s_delay_alu instid0(VALU_DEP_4)
	v_dual_sub_f32 v22, v19, v37 :: v_dual_fmac_f32 v1, v81, v0
	v_fma_f32 v0, v12, v2, -v87
	v_mul_f32_e32 v55, v79, v59
	v_fma_f32 v23, v23, v70, -v46
	v_mul_f32_e32 v59, v80, v61
	v_fmac_f32_e32 v41, v78, v56
	v_sub_f32_e32 v0, v18, v0
	v_fma_f32 v25, v25, v58, -v55
	v_fmac_f32_e32 v57, v79, v58
	v_fmac_f32_e32 v35, v82, v68
	v_sub_f32_e32 v13, v15, v13
	v_mul_f32_e32 v69, v21, v75
	v_sub_f32_e32 v23, v25, v23
	v_fma_f32 v19, v19, 2.0, -v22
	v_sub_f32_e32 v33, v41, v35
	v_sub_f32_e32 v35, v57, v50
	v_mul_f32_e32 v61, v32, v61
	v_fma_f32 v15, v15, 2.0, -v13
	v_fma_f32 v25, v25, 2.0, -v23
	v_fmac_f32_e32 v51, v77, v54
	v_mul_f32_e32 v54, v85, v75
	v_fma_f32 v32, v32, v60, -v59
	v_fmac_f32_e32 v69, v85, v74
	v_mul_f32_e32 v67, v27, v67
	v_fma_f32 v27, v27, v66, -v90
	v_fma_f32 v21, v21, v74, -v54
	v_sub_f32_e32 v20, v32, v20
	v_sub_f32_e32 v46, v1, v69
	v_fmac_f32_e32 v67, v29, v66
	v_sub_f32_e32 v55, v0, v33
	v_sub_f32_e32 v21, v53, v21
	v_fma_f32 v32, v32, 2.0, -v20
	v_add_f32_e32 v58, v28, v20
	v_dual_sub_f32 v20, v13, v35 :: v_dual_fmac_f32 v61, v80, v60
	v_fma_f32 v45, v40, 2.0, -v28
	v_fma_f32 v18, v18, 2.0, -v0
	s_delay_alu instid0(VALU_DEP_4) | instskip(NEXT) | instid1(VALU_DEP_4)
	v_fma_f32 v60, v28, 2.0, -v58
	v_fma_f32 v13, v13, 2.0, -v20
	v_sub_f32_e32 v29, v61, v52
	v_fma_f32 v52, v57, 2.0, -v35
	v_fma_f32 v24, v24, 2.0, -v26
	;; [unrolled: 1-line block ×3, first 2 shown]
	s_delay_alu instid0(VALU_DEP_4) | instskip(SKIP_3) | instid1(VALU_DEP_4)
	v_dual_sub_f32 v56, v22, v29 :: v_dual_sub_f32 v31, v17, v63
	v_sub_f32_e32 v27, v47, v27
	v_fma_f32 v40, v61, 2.0, -v29
	v_sub_f32_e32 v35, v18, v24
	v_fma_f32 v59, v22, 2.0, -v56
	v_sub_f32_e32 v22, v15, v25
	v_sub_f32_e32 v37, v51, v67
	v_fmamk_f32 v61, v56, 0x3f3504f3, v55
	v_fma_f32 v17, v17, 2.0, -v31
	v_mul_f32_e32 v56, 0x3f3504f3, v56
	v_fma_f32 v47, v47, 2.0, -v27
	v_sub_f32_e32 v29, v27, v46
	v_fmac_f32_e32 v61, 0xbf3504f3, v58
	v_mul_f32_e32 v58, 0x3f3504f3, v58
	v_fma_f32 v54, v51, 2.0, -v37
	v_fma_f32 v51, v53, 2.0, -v21
	;; [unrolled: 1-line block ×3, first 2 shown]
	v_add_f32_e32 v23, v31, v23
	v_add_f32_e32 v21, v37, v21
	v_sub_f32_e32 v1, v19, v32
	v_sub_f32_e32 v50, v45, v40
	;; [unrolled: 1-line block ×5, first 2 shown]
	v_fma_f32 v46, v27, 2.0, -v29
	v_fmamk_f32 v0, v29, 0x3f3504f3, v20
	v_fma_f32 v31, v31, 2.0, -v23
	v_fma_f32 v53, v37, 2.0, -v21
	;; [unrolled: 1-line block ×5, first 2 shown]
	v_fmamk_f32 v54, v59, 0xbf3504f3, v57
	v_fmamk_f32 v24, v46, 0xbf3504f3, v13
	;; [unrolled: 1-line block ×3, first 2 shown]
	v_fma_f32 v18, v18, 2.0, -v35
	v_fma_f32 v19, v19, 2.0, -v1
	;; [unrolled: 1-line block ×3, first 2 shown]
	v_dual_sub_f32 v62, v35, v50 :: v_dual_sub_f32 v63, v22, v40
	v_dual_fmac_f32 v0, 0xbf3504f3, v21 :: v_dual_fmamk_f32 v27, v53, 0xbf3504f3, v31
	v_fmac_f32_e32 v54, 0xbf3504f3, v60
	v_fmac_f32_e32 v24, 0xbf3504f3, v53
	v_dual_add_f32 v64, v28, v32 :: v_dual_fmac_f32 v25, 0x3f3504f3, v29
	v_sub_f32_e32 v19, v18, v19
	v_fma_f32 v21, v35, 2.0, -v62
	v_fma_f32 v29, v55, 2.0, -v61
	v_sub_f32_e32 v37, v15, v17
	v_fma_f32 v53, v22, 2.0, -v63
	v_fma_f32 v35, v20, 2.0, -v0
	v_fmac_f32_e32 v27, 0x3f3504f3, v46
	v_fmamk_f32 v17, v63, 0x3f3504f3, v62
	v_fmamk_f32 v40, v0, 0x3f6c835e, v61
	v_fma_f32 v20, v57, 2.0, -v54
	v_fma_f32 v32, v13, 2.0, -v24
	;; [unrolled: 1-line block ×6, first 2 shown]
	v_fmamk_f32 v13, v53, 0xbf3504f3, v21
	v_fmamk_f32 v22, v35, 0xbec3ef15, v29
	v_sub_f32_e32 v52, v51, v47
	v_fmamk_f32 v28, v24, 0x3ec3ef15, v54
	v_fma_f32 v47, v31, 2.0, -v27
	v_fmac_f32_e32 v17, 0xbf3504f3, v64
	v_fmac_f32_e32 v40, 0xbec3ef15, v25
	v_fmamk_f32 v31, v32, 0xbf6c835e, v20
	v_sub_f32_e32 v15, v18, v15
	v_fmac_f32_e32 v13, 0xbf3504f3, v55
	v_dual_fmac_f32 v22, 0xbf6c835e, v46 :: v_dual_sub_f32 v23, v19, v52
	v_fmac_f32_e32 v28, 0xbf6c835e, v27
	v_fma_f32 v57, v62, 2.0, -v17
	v_fma_f32 v61, v61, 2.0, -v40
	v_fmac_f32_e32 v31, 0xbec3ef15, v47
	ds_store_2addr_b32 v43, v17, v40 offset0:140 offset1:150
	v_fma_f32 v17, v18, 2.0, -v15
	v_fma_f32 v18, v21, 2.0, -v13
	;; [unrolled: 1-line block ×5, first 2 shown]
	ds_store_2addr_b32 v43, v57, v61 offset0:60 offset1:70
	ds_store_2addr_b32 v43, v13, v22 offset0:100 offset1:110
	v_fma_f32 v13, v20, 2.0, -v31
	ds_store_2addr_b32 v43, v23, v28 offset0:120 offset1:130
	ds_store_2addr_b32 v43, v18, v21 offset0:20 offset1:30
	;; [unrolled: 1-line block ×4, first 2 shown]
	ds_store_2addr_b32 v43, v17, v13 offset1:10
	global_wb scope:SCOPE_SE
	s_wait_dscnt 0x0
	s_barrier_signal -1
	s_barrier_wait -1
	global_inv scope:SCOPE_SE
	ds_load_2addr_b32 v[17:18], v49 offset1:90
	ds_load_2addr_b32 v[13:14], v14 offset0:104 offset1:224
	ds_load_2addr_b32 v[28:29], v39 offset0:64 offset1:154
	;; [unrolled: 1-line block ×6, first 2 shown]
	ds_load_b32 v23, v49 offset:5280
	v_mul_f32_e32 v38, 0x3f3504f3, v53
	v_dual_mul_f32 v54, 0x3f3504f3, v59 :: v_dual_mul_f32 v57, 0x3f3504f3, v60
	v_mul_f32_e32 v53, 0x3f3504f3, v55
	v_dual_mul_f32 v44, 0x3f3504f3, v63 :: v_dual_mul_f32 v55, 0x3f3504f3, v64
	s_and_saveexec_b32 s1, s0
	s_cbranch_execz .LBB0_21
; %bb.20:
	ds_load_b32 v40, v49 offset:1800
	ds_load_b32 v8, v49 offset:3720
	;; [unrolled: 1-line block ×3, first 2 shown]
.LBB0_21:
	s_wait_alu 0xfffe
	s_or_b32 exec_lo, exec_lo, s1
	v_mul_f32_e32 v3, v12, v3
	global_wb scope:SCOPE_SE
	s_wait_dscnt 0x0
	s_barrier_signal -1
	s_barrier_wait -1
	global_inv scope:SCOPE_SE
	v_fmac_f32_e32 v3, v36, v2
	s_delay_alu instid0(VALU_DEP_1) | instskip(SKIP_2) | instid1(VALU_DEP_3)
	v_sub_f32_e32 v2, v34, v3
	v_fma_f32 v3, v41, 2.0, -v33
	v_fma_f32 v33, v45, 2.0, -v50
	;; [unrolled: 1-line block ×4, first 2 shown]
	s_delay_alu instid0(VALU_DEP_2) | instskip(NEXT) | instid1(VALU_DEP_1)
	v_sub_f32_e32 v3, v12, v3
	v_dual_add_f32 v1, v3, v1 :: v_dual_add_f32 v26, v2, v26
	s_delay_alu instid0(VALU_DEP_1) | instskip(NEXT) | instid1(VALU_DEP_2)
	v_add_f32_e32 v50, v1, v55
	v_add_f32_e32 v36, v26, v58
	v_fma_f32 v2, v2, 2.0, -v26
	v_fma_f32 v12, v12, 2.0, -v3
	;; [unrolled: 1-line block ×3, first 2 shown]
	v_add_f32_e32 v44, v44, v50
	s_delay_alu instid0(VALU_DEP_4) | instskip(NEXT) | instid1(VALU_DEP_2)
	v_dual_add_f32 v36, v56, v36 :: v_dual_sub_f32 v41, v2, v57
	v_fma_f32 v1, v1, 2.0, -v44
	s_delay_alu instid0(VALU_DEP_2) | instskip(SKIP_1) | instid1(VALU_DEP_4)
	v_fma_f32 v26, v26, 2.0, -v36
	v_sub_f32_e32 v33, v12, v33
	v_add_f32_e32 v45, v54, v41
	s_delay_alu instid0(VALU_DEP_3) | instskip(NEXT) | instid1(VALU_DEP_3)
	v_fmamk_f32 v46, v46, 0xbec3ef15, v26
	v_fma_f32 v12, v12, 2.0, -v33
	v_fmamk_f32 v41, v25, 0x3f6c835e, v36
	s_delay_alu instid0(VALU_DEP_4) | instskip(NEXT) | instid1(VALU_DEP_4)
	v_fma_f32 v2, v2, 2.0, -v45
	v_dual_sub_f32 v25, v3, v53 :: v_dual_fmac_f32 v46, 0x3f6c835e, v35
	v_add_f32_e32 v37, v33, v37
	s_delay_alu instid0(VALU_DEP_4) | instskip(NEXT) | instid1(VALU_DEP_4)
	v_dual_fmac_f32 v41, 0x3ec3ef15, v0 :: v_dual_sub_f32 v0, v12, v34
	v_fmamk_f32 v34, v47, 0xbf6c835e, v2
	v_fmamk_f32 v27, v27, 0x3ec3ef15, v45
	v_add_f32_e32 v25, v38, v25
	v_fma_f32 v26, v26, 2.0, -v46
	v_fma_f32 v33, v33, 2.0, -v37
	v_fmac_f32_e32 v34, 0x3ec3ef15, v32
	v_fmac_f32_e32 v27, 0x3f6c835e, v24
	v_fma_f32 v24, v36, 2.0, -v41
	v_fma_f32 v3, v3, 2.0, -v25
	ds_store_2addr_b32 v43, v44, v41 offset0:140 offset1:150
	v_fma_f32 v12, v12, 2.0, -v0
	v_fma_f32 v32, v45, 2.0, -v27
	ds_store_2addr_b32 v43, v1, v24 offset0:60 offset1:70
	ds_store_2addr_b32 v43, v25, v46 offset0:100 offset1:110
	v_fma_f32 v1, v2, 2.0, -v34
	ds_store_2addr_b32 v43, v37, v27 offset0:120 offset1:130
	ds_store_2addr_b32 v43, v3, v26 offset0:20 offset1:30
	;; [unrolled: 1-line block ×4, first 2 shown]
	ds_store_2addr_b32 v43, v12, v1 offset1:10
	v_add_nc_u32_e32 v0, 0x400, v49
	global_wb scope:SCOPE_SE
	s_wait_dscnt 0x0
	s_barrier_signal -1
	s_barrier_wait -1
	global_inv scope:SCOPE_SE
	ds_load_2addr_b32 v[24:25], v49 offset1:90
	ds_load_2addr_b32 v[2:3], v0 offset0:104 offset1:224
	v_add_nc_u32_e32 v0, 0x800, v49
	v_add_nc_u32_e32 v1, 0x200, v49
	;; [unrolled: 1-line block ×4, first 2 shown]
	ds_load_2addr_b32 v[36:37], v39 offset0:64 offset1:154
	ds_load_2addr_b32 v[38:39], v0 offset0:58 offset1:148
	ds_load_2addr_b32 v[26:27], v1 offset0:52 offset1:142
	ds_load_2addr_b32 v[34:35], v12 offset0:116 offset1:206
	ds_load_2addr_b32 v[32:33], v32 offset0:110 offset1:200
	ds_load_b32 v12, v49 offset:5280
	s_and_saveexec_b32 s1, s0
	s_cbranch_execz .LBB0_23
; %bb.22:
	ds_load_b32 v41, v49 offset:1800
	ds_load_b32 v10, v49 offset:3720
	;; [unrolled: 1-line block ×3, first 2 shown]
.LBB0_23:
	s_wait_alu 0xfffe
	s_or_b32 exec_lo, exec_lo, s1
	v_dual_mov_b32 v44, 0 :: v_dual_lshlrev_b32 v43, 1, v48
	v_add_nc_u32_e32 v45, 0xffffffba, v48
	v_cmp_gt_u32_e64 s1, 0x46, v48
	s_delay_alu instid0(VALU_DEP_3) | instskip(NEXT) | instid1(VALU_DEP_4)
	v_mov_b32_e32 v46, v44
	v_lshlrev_b64_e32 v[0:1], 3, v[43:44]
	s_wait_alu 0xf1ff
	s_delay_alu instid0(VALU_DEP_3) | instskip(NEXT) | instid1(VALU_DEP_2)
	v_cndmask_b32_e64 v54, v45, v42, s1
	v_add_co_u32 v0, s1, s4, v0
	s_wait_alu 0xf1ff
	s_delay_alu instid0(VALU_DEP_3)
	v_add_co_ci_u32_e64 v1, s1, s5, v1, s1
	global_load_b128 v[60:63], v[0:1], off offset:1200
	v_add_nc_u32_e32 v43, 40, v43
	v_lshlrev_b32_e32 v45, 1, v54
	v_add_nc_u32_e32 v47, 0x10e, v48
	v_add_nc_u32_e32 v51, 0x168, v48
	v_lshlrev_b32_e32 v54, 2, v54
	v_lshlrev_b64_e32 v[52:53], 3, v[43:44]
	v_lshlrev_b64_e32 v[44:45], 3, v[45:46]
	s_delay_alu instid0(VALU_DEP_2) | instskip(SKIP_1) | instid1(VALU_DEP_3)
	v_add_co_u32 v52, s1, s4, v52
	s_wait_alu 0xf1ff
	v_add_co_ci_u32_e64 v53, s1, s5, v53, s1
	s_delay_alu instid0(VALU_DEP_3)
	v_add_co_u32 v44, s1, s4, v44
	s_wait_alu 0xf1ff
	v_add_co_ci_u32_e64 v45, s1, s5, v45, s1
	global_load_b128 v[64:67], v[52:53], off offset:1200
	v_cmp_lt_u32_e64 s1, 0x45, v48
	global_load_b128 v[68:71], v[44:45], off offset:1200
	v_and_b32_e32 v46, 0xffff, v47
	v_and_b32_e32 v50, 0xffff, v51
	v_add_nc_u32_e32 v43, 0x1c2, v48
	s_delay_alu instid0(VALU_DEP_3) | instskip(NEXT) | instid1(VALU_DEP_3)
	v_mul_u32_u24_e32 v46, 0xcccd, v46
	v_mul_u32_u24_e32 v45, 0xcccd, v50
	s_delay_alu instid0(VALU_DEP_3) | instskip(NEXT) | instid1(VALU_DEP_3)
	v_and_b32_e32 v44, 0xffff, v43
	v_lshrrev_b32_e32 v46, 23, v46
	s_delay_alu instid0(VALU_DEP_3) | instskip(NEXT) | instid1(VALU_DEP_3)
	v_lshrrev_b32_e32 v45, 23, v45
	v_mul_u32_u24_e32 v44, 0xcccd, v44
	s_delay_alu instid0(VALU_DEP_3) | instskip(NEXT) | instid1(VALU_DEP_3)
	v_mul_lo_u16 v50, 0xa0, v46
	v_mul_lo_u16 v45, 0xa0, v45
	s_delay_alu instid0(VALU_DEP_3) | instskip(SKIP_1) | instid1(VALU_DEP_4)
	v_lshrrev_b32_e32 v44, 23, v44
	v_mul_u32_u24_e32 v46, 0x780, v46
	v_sub_nc_u16 v50, v47, v50
	s_delay_alu instid0(VALU_DEP_3) | instskip(NEXT) | instid1(VALU_DEP_2)
	v_mul_lo_u16 v44, 0xa0, v44
	v_and_b32_e32 v52, 0xffff, v50
	s_delay_alu instid0(VALU_DEP_2) | instskip(NEXT) | instid1(VALU_DEP_2)
	v_sub_nc_u16 v44, v43, v44
	v_lshlrev_b32_e32 v50, 4, v52
	s_delay_alu instid0(VALU_DEP_2)
	v_and_b32_e32 v44, 0xffff, v44
	global_load_b128 v[72:75], v50, s[4:5] offset:1200
	s_wait_loadcnt 0x3
	v_mul_f32_e32 v56, v28, v63
	v_mul_f32_e32 v58, v14, v61
	s_wait_dscnt 0x5
	s_delay_alu instid0(VALU_DEP_2) | instskip(SKIP_1) | instid1(VALU_DEP_1)
	v_fmac_f32_e32 v56, v36, v62
	v_sub_nc_u16 v45, v51, v45
	v_dual_fmac_f32 v58, v3, v60 :: v_dual_and_b32 v45, 0xffff, v45
	s_delay_alu instid0(VALU_DEP_1)
	v_lshlrev_b32_e32 v53, 4, v45
	s_wait_loadcnt 0x1
	v_dual_mul_f32 v57, v29, v71 :: v_dual_lshlrev_b32 v50, 4, v44
	s_clause 0x1
	global_load_b128 v[76:79], v53, s[4:5] offset:1200
	global_load_b128 v[80:83], v50, s[4:5] offset:1200
	s_wait_alu 0xf1ff
	v_cndmask_b32_e64 v53, 0, 0x780, s1
	v_lshl_add_u32 v50, v48, 2, 0
	global_wb scope:SCOPE_SE
	s_wait_loadcnt_dscnt 0x0
	s_barrier_signal -1
	v_fmac_f32_e32 v57, v37, v70
	v_add3_u32 v54, 0, v53, v54
	v_lshl_add_u32 v53, v45, 2, 0
	v_mul_f32_e32 v45, v36, v63
	v_lshlrev_b32_e32 v55, 2, v52
	v_lshl_add_u32 v52, v44, 2, 0
	v_dual_mul_f32 v44, v3, v61 :: v_dual_mul_f32 v3, v21, v67
	s_delay_alu instid0(VALU_DEP_4) | instskip(SKIP_1) | instid1(VALU_DEP_3)
	v_fma_f32 v61, v28, v62, -v45
	v_dual_mul_f32 v28, v34, v67 :: v_dual_mul_f32 v45, v31, v65
	v_fma_f32 v59, v14, v60, -v44
	v_mul_f32_e32 v44, v38, v69
	v_mul_f32_e32 v14, v39, v65
	s_delay_alu instid0(VALU_DEP_4) | instskip(SKIP_2) | instid1(VALU_DEP_4)
	v_fma_f32 v36, v21, v66, -v28
	v_fmac_f32_e32 v45, v39, v64
	v_dual_add_f32 v21, v59, v61 :: v_dual_sub_f32 v28, v58, v56
	v_fma_f32 v31, v31, v64, -v14
	v_fma_f32 v39, v30, v68, -v44
	v_add_f32_e32 v14, v17, v59
	s_delay_alu instid0(VALU_DEP_4)
	v_fma_f32 v17, -0.5, v21, v17
	v_add_nc_u32_e32 v84, 0x700, v50
	v_add3_u32 v55, 0, v46, v55
	v_dual_fmac_f32 v3, v34, v66 :: v_dual_add_nc_u32 v46, 0xe00, v53
	v_mul_f32_e32 v67, v32, v73
	v_dual_mul_f32 v60, v30, v69 :: v_dual_fmamk_f32 v63, v28, 0x3f5db3d7, v17
	v_dual_mul_f32 v62, v37, v71 :: v_dual_fmac_f32 v17, 0xbf5db3d7, v28
	s_delay_alu instid0(VALU_DEP_2) | instskip(SKIP_1) | instid1(VALU_DEP_3)
	v_dual_add_f32 v21, v15, v31 :: v_dual_fmac_f32 v60, v38, v68
	v_sub_f32_e32 v44, v45, v3
	v_fma_f32 v62, v29, v70, -v62
	v_add_f32_e32 v29, v31, v36
	v_mul_f32_e32 v38, v19, v73
	s_barrier_wait -1
	global_inv scope:SCOPE_SE
	v_add_f32_e32 v65, v39, v62
	v_fma_f32 v15, -0.5, v29, v15
	v_dual_add_f32 v14, v14, v61 :: v_dual_add_f32 v21, v21, v36
	ds_store_2addr_b32 v49, v14, v63 offset1:160
	ds_store_b32 v49, v17 offset:1280
	v_fma_f32 v63, v19, v72, -v67
	v_mul_f32_e32 v37, v22, v75
	s_delay_alu instid0(VALU_DEP_1)
	v_fmac_f32_e32 v37, v35, v74
	v_mul_f32_e32 v69, v33, v77
	v_sub_f32_e32 v66, v60, v57
	v_dual_mul_f32 v71, v10, v81 :: v_dual_mul_f32 v70, v12, v79
	v_add_f32_e32 v64, v18, v39
	v_dual_mul_f32 v30, v20, v77 :: v_dual_mul_f32 v73, v11, v83
	v_dual_mul_f32 v34, v8, v81 :: v_dual_mul_f32 v29, v9, v83
	v_dual_fmac_f32 v18, -0.5, v65 :: v_dual_fmamk_f32 v65, v44, 0x3f5db3d7, v15
	s_delay_alu instid0(VALU_DEP_4)
	v_dual_mul_f32 v68, v35, v75 :: v_dual_add_f32 v75, v64, v62
	v_fmac_f32_e32 v15, 0xbf5db3d7, v44
	v_fma_f32 v35, v23, v78, -v70
	v_fmac_f32_e32 v38, v32, v72
	v_fma_f32 v32, v20, v76, -v69
	;; [unrolled: 2-line block ×3, first 2 shown]
	v_fma_f32 v33, v8, v80, -v71
	v_fma_f32 v9, v9, v82, -v73
	v_dual_add_f32 v17, v32, v35 :: v_dual_fmac_f32 v34, v10, v80
	v_dual_fmac_f32 v29, v11, v82 :: v_dual_add_f32 v14, v13, v32
	v_add_f32_e32 v11, v63, v64
	s_delay_alu instid0(VALU_DEP_3) | instskip(NEXT) | instid1(VALU_DEP_3)
	v_dual_fmac_f32 v13, -0.5, v17 :: v_dual_mul_f32 v28, v23, v79
	v_sub_f32_e32 v23, v34, v29
	v_add_f32_e32 v22, v33, v9
	v_fmamk_f32 v8, v66, 0x3f5db3d7, v18
	v_add_f32_e32 v10, v16, v63
	v_fmac_f32_e32 v28, v12, v78
	v_fmac_f32_e32 v18, 0xbf5db3d7, v66
	v_add_f32_e32 v20, v40, v33
	v_fmac_f32_e32 v16, -0.5, v11
	v_add_f32_e32 v11, v14, v35
	v_sub_f32_e32 v19, v30, v28
	v_sub_f32_e32 v12, v38, v37
	v_fmac_f32_e32 v40, -0.5, v22
	ds_store_2addr_b32 v54, v75, v8 offset1:160
	ds_store_b32 v54, v18 offset:1280
	ds_store_2addr_b32 v84, v21, v65 offset0:52 offset1:212
	ds_store_b32 v50, v15 offset:3280
	v_add_f32_e32 v10, v10, v64
	v_add_f32_e32 v8, v20, v9
	v_fmamk_f32 v14, v12, 0x3f5db3d7, v16
	v_fmamk_f32 v44, v23, 0x3f5db3d7, v40
	v_fmac_f32_e32 v40, 0xbf5db3d7, v23
	v_fmac_f32_e32 v16, 0xbf5db3d7, v12
	v_fmamk_f32 v12, v19, 0x3f5db3d7, v13
	v_fmac_f32_e32 v13, 0xbf5db3d7, v19
	ds_store_2addr_b32 v55, v10, v14 offset1:160
	ds_store_b32 v55, v16 offset:1280
	ds_store_2addr_b32 v46, v11, v12 offset0:64 offset1:224
	ds_store_b32 v53, v13 offset:5120
	s_and_saveexec_b32 s1, s0
	s_cbranch_execz .LBB0_25
; %bb.24:
	v_add_nc_u32_e32 v10, 0xe00, v52
	ds_store_2addr_b32 v10, v8, v44 offset0:64 offset1:224
	ds_store_b32 v52, v40 offset:5120
.LBB0_25:
	s_wait_alu 0xfffe
	s_or_b32 exec_lo, exec_lo, s1
	v_add_nc_u32_e32 v12, 0x400, v49
	global_wb scope:SCOPE_SE
	s_wait_dscnt 0x0
	s_barrier_signal -1
	s_barrier_wait -1
	global_inv scope:SCOPE_SE
	ds_load_2addr_b32 v[10:11], v49 offset1:90
	ds_load_2addr_b32 v[18:19], v12 offset0:104 offset1:224
	v_add_nc_u32_e32 v12, 0xe00, v49
	v_add_nc_u32_e32 v13, 0x800, v49
	v_add_nc_u32_e32 v20, 0x200, v49
	v_add_nc_u32_e32 v21, 0x1000, v49
	v_add_nc_u32_e32 v22, 0xa00, v49
	ds_load_2addr_b32 v[14:15], v12 offset0:64 offset1:154
	ds_load_2addr_b32 v[16:17], v13 offset0:58 offset1:148
	;; [unrolled: 1-line block ×5, first 2 shown]
	ds_load_b32 v46, v49 offset:5280
	s_and_saveexec_b32 s1, s0
	s_cbranch_execz .LBB0_27
; %bb.26:
	ds_load_b32 v8, v49 offset:1800
	ds_load_b32 v44, v49 offset:3720
	;; [unrolled: 1-line block ×3, first 2 shown]
.LBB0_27:
	s_wait_alu 0xfffe
	s_or_b32 exec_lo, exec_lo, s1
	v_dual_add_f32 v65, v58, v56 :: v_dual_add_f32 v58, v24, v58
	v_sub_f32_e32 v59, v59, v61
	v_dual_add_f32 v61, v60, v57 :: v_dual_add_f32 v60, v25, v60
	s_delay_alu instid0(VALU_DEP_3) | instskip(NEXT) | instid1(VALU_DEP_4)
	v_fma_f32 v24, -0.5, v65, v24
	v_dual_add_f32 v56, v58, v56 :: v_dual_sub_f32 v39, v39, v62
	s_delay_alu instid0(VALU_DEP_3) | instskip(SKIP_1) | instid1(VALU_DEP_4)
	v_fmac_f32_e32 v25, -0.5, v61
	v_sub_f32_e32 v31, v31, v36
	v_fmamk_f32 v58, v59, 0xbf5db3d7, v24
	v_fmac_f32_e32 v24, 0x3f5db3d7, v59
	v_dual_add_f32 v59, v45, v3 :: v_dual_add_f32 v36, v27, v38
	v_dual_add_f32 v57, v60, v57 :: v_dual_fmamk_f32 v60, v39, 0xbf5db3d7, v25
	v_add_f32_e32 v45, v26, v45
	v_fmac_f32_e32 v25, 0x3f5db3d7, v39
	s_delay_alu instid0(VALU_DEP_4) | instskip(SKIP_1) | instid1(VALU_DEP_4)
	v_fma_f32 v26, -0.5, v59, v26
	v_dual_add_f32 v39, v38, v37 :: v_dual_sub_f32 v38, v63, v64
	v_add_f32_e32 v3, v45, v3
	v_dual_sub_f32 v32, v32, v35 :: v_dual_sub_f32 v33, v33, v9
	s_delay_alu instid0(VALU_DEP_3)
	v_fmac_f32_e32 v27, -0.5, v39
	v_fmamk_f32 v39, v31, 0xbf5db3d7, v26
	v_dual_fmac_f32 v26, 0x3f5db3d7, v31 :: v_dual_add_f32 v31, v36, v37
	v_add_f32_e32 v36, v30, v28
	v_add_f32_e32 v30, v2, v30
	global_wb scope:SCOPE_SE
	s_wait_dscnt 0x0
	s_barrier_signal -1
	s_barrier_wait -1
	v_dual_fmac_f32 v2, -0.5, v36 :: v_dual_fmamk_f32 v37, v38, 0xbf5db3d7, v27
	v_dual_fmac_f32 v27, 0x3f5db3d7, v38 :: v_dual_add_f32 v28, v30, v28
	v_add_f32_e32 v38, v34, v29
	v_add_f32_e32 v34, v41, v34
	s_delay_alu instid0(VALU_DEP_4)
	v_fmamk_f32 v30, v32, 0xbf5db3d7, v2
	v_fmac_f32_e32 v2, 0x3f5db3d7, v32
	global_inv scope:SCOPE_SE
	v_fmac_f32_e32 v41, -0.5, v38
	v_add_f32_e32 v9, v34, v29
	v_add_nc_u32_e32 v29, 0x700, v50
	ds_store_2addr_b32 v49, v56, v58 offset1:160
	ds_store_b32 v49, v24 offset:1280
	ds_store_2addr_b32 v54, v57, v60 offset1:160
	ds_store_b32 v54, v25 offset:1280
	v_fmamk_f32 v45, v33, 0xbf5db3d7, v41
	v_fmac_f32_e32 v41, 0x3f5db3d7, v33
	v_add_nc_u32_e32 v24, 0xe00, v53
	ds_store_2addr_b32 v29, v3, v39 offset0:52 offset1:212
	ds_store_b32 v50, v26 offset:3280
	ds_store_2addr_b32 v55, v31, v37 offset1:160
	ds_store_b32 v55, v27 offset:1280
	ds_store_2addr_b32 v24, v28, v30 offset0:64 offset1:224
	ds_store_b32 v53, v2 offset:5120
	s_and_saveexec_b32 s1, s0
	s_cbranch_execz .LBB0_29
; %bb.28:
	v_add_nc_u32_e32 v2, 0xe00, v52
	ds_store_2addr_b32 v2, v9, v45 offset0:64 offset1:224
	ds_store_b32 v52, v41 offset:5120
.LBB0_29:
	s_wait_alu 0xfffe
	s_or_b32 exec_lo, exec_lo, s1
	v_add_nc_u32_e32 v2, 0x400, v49
	global_wb scope:SCOPE_SE
	s_wait_dscnt 0x0
	s_barrier_signal -1
	s_barrier_wait -1
	global_inv scope:SCOPE_SE
	ds_load_2addr_b32 v[24:25], v49 offset1:90
	ds_load_2addr_b32 v[32:33], v2 offset0:104 offset1:224
	v_add_nc_u32_e32 v2, 0xe00, v49
	v_add_nc_u32_e32 v3, 0x800, v49
	;; [unrolled: 1-line block ×5, first 2 shown]
	ds_load_2addr_b32 v[28:29], v2 offset0:64 offset1:154
	ds_load_2addr_b32 v[30:31], v3 offset0:58 offset1:148
	ds_load_2addr_b32 v[26:27], v26 offset0:52 offset1:142
	ds_load_2addr_b32 v[34:35], v34 offset0:116 offset1:206
	ds_load_2addr_b32 v[36:37], v36 offset0:110 offset1:200
	ds_load_b32 v50, v49 offset:5280
	s_and_saveexec_b32 s1, s0
	s_cbranch_execz .LBB0_31
; %bb.30:
	ds_load_b32 v9, v49 offset:1800
	ds_load_b32 v45, v49 offset:3720
	;; [unrolled: 1-line block ×3, first 2 shown]
.LBB0_31:
	s_wait_alu 0xfffe
	s_or_b32 exec_lo, exec_lo, s1
	s_and_saveexec_b32 s1, vcc_lo
	s_cbranch_execz .LBB0_34
; %bb.32:
	v_mul_hi_u32 v49, 0x88888889, v48
	v_add_nc_u32_e32 v63, 0x10e, v48
	v_add_nc_u32_e32 v64, 0x168, v48
	v_dual_mov_b32 v39, 0 :: v_dual_lshlrev_b32 v38, 1, v51
	v_mul_lo_u32 v55, s3, v6
	s_delay_alu instid0(VALU_DEP_4) | instskip(NEXT) | instid1(VALU_DEP_4)
	v_mul_hi_u32 v58, 0x88888889, v63
	v_mul_hi_u32 v59, 0x88888889, v64
	v_lshrrev_b32_e32 v49, 8, v49
	v_mul_lo_u32 v56, s2, v7
	v_mad_co_u64_u32 v[51:52], null, s2, v6, 0
	v_lshlrev_b64_e32 v[2:3], 3, v[38:39]
	s_delay_alu instid0(VALU_DEP_4)
	v_mul_u32_u24_e32 v49, 0x1e0, v49
	v_lshrrev_b32_e32 v69, 8, v58
	v_lshrrev_b32_e32 v70, 8, v59
	v_lshlrev_b32_e32 v38, 1, v47
	v_lshlrev_b64_e32 v[53:54], 3, v[4:5]
	v_sub_nc_u32_e32 v49, v48, v49
	v_mul_u32_u24_e32 v65, 0x1e0, v69
	v_mul_u32_u24_e32 v66, 0x1e0, v70
	v_add3_u32 v52, v52, v56, v55
	v_lshlrev_b64_e32 v[55:56], 3, v[38:39]
	v_add_nc_u32_e32 v83, 0x3c0, v49
	v_sub_nc_u32_e32 v72, v63, v65
	v_sub_nc_u32_e32 v73, v64, v66
	v_lshl_add_u32 v38, v48, 1, 0x168
	v_add_co_u32 v2, vcc_lo, s4, v2
	v_mad_co_u64_u32 v[65:66], null, s16, v83, 0
	v_add_nc_u32_e32 v62, 0xb4, v48
	v_lshlrev_b64_e32 v[51:52], 3, v[51:52]
	s_wait_alu 0xfffd
	v_add_co_ci_u32_e32 v3, vcc_lo, s5, v3, vcc_lo
	v_add_co_u32 v55, vcc_lo, s4, v55
	v_mul_hi_u32 v57, 0x88888889, v62
	s_wait_alu 0xfffd
	v_add_co_ci_u32_e32 v56, vcc_lo, s5, v56, vcc_lo
	v_add_nc_u32_e32 v79, 0x1e0, v49
	v_mad_u32_u24 v94, 0x5a0, v69, v72
	v_mad_u32_u24 v97, 0x5a0, v70, v73
	s_clause 0x1
	global_load_b128 v[4:7], v[0:1], off offset:3760
	global_load_b128 v[0:3], v[2:3], off offset:3760
	v_lshrrev_b32_e32 v68, 8, v57
	v_lshlrev_b64_e32 v[57:58], 3, v[38:39]
	v_lshlrev_b32_e32 v38, 1, v42
	v_mad_co_u64_u32 v[63:64], null, s16, v79, 0
	v_mad_co_u64_u32 v[88:89], null, s16, v97, 0
	s_delay_alu instid0(VALU_DEP_3)
	v_lshlrev_b64_e32 v[59:60], 3, v[38:39]
	v_add_co_u32 v38, vcc_lo, s10, v51
	s_wait_alu 0xfffd
	v_add_co_ci_u32_e32 v71, vcc_lo, s11, v52, vcc_lo
	v_mad_co_u64_u32 v[51:52], null, s16, v49, 0
	v_add_nc_u32_e32 v61, 0x5a, v48
	v_add_co_u32 v57, vcc_lo, s4, v57
	s_wait_alu 0xfffd
	v_add_co_ci_u32_e32 v58, vcc_lo, s5, v58, vcc_lo
	s_delay_alu instid0(VALU_DEP_3) | instskip(NEXT) | instid1(VALU_DEP_1)
	v_mul_hi_u32 v47, 0x88888889, v61
	v_lshrrev_b32_e32 v67, 8, v47
	v_mul_u32_u24_e32 v47, 0x1e0, v68
	s_delay_alu instid0(VALU_DEP_2) | instskip(NEXT) | instid1(VALU_DEP_1)
	v_mul_u32_u24_e32 v42, 0x1e0, v67
	v_sub_nc_u32_e32 v61, v61, v42
	v_add_co_u32 v42, vcc_lo, v38, v53
	v_mov_b32_e32 v38, v52
	s_delay_alu instid0(VALU_DEP_3) | instskip(NEXT) | instid1(VALU_DEP_2)
	v_mad_u32_u24 v61, 0x5a0, v67, v61
	v_mad_co_u64_u32 v[52:53], null, s17, v49, v[38:39]
	v_dual_mov_b32 v38, v64 :: v_dual_mov_b32 v49, v66
	v_sub_nc_u32_e32 v62, v62, v47
	s_wait_alu 0xfffd
	v_add_co_ci_u32_e32 v47, vcc_lo, v71, v54, vcc_lo
	s_delay_alu instid0(VALU_DEP_3) | instskip(NEXT) | instid1(VALU_DEP_3)
	v_mad_co_u64_u32 v[53:54], null, s17, v79, v[38:39]
	v_mad_u32_u24 v84, 0x5a0, v68, v62
	v_add_nc_u32_e32 v93, 0x1e0, v94
	v_lshlrev_b64_e32 v[51:52], 3, v[51:52]
	v_add_co_u32 v59, vcc_lo, s4, v59
	s_delay_alu instid0(VALU_DEP_4)
	v_mad_co_u64_u32 v[69:70], null, s16, v84, 0
	v_mov_b32_e32 v64, v53
	v_mad_co_u64_u32 v[81:82], null, s16, v93, 0
	v_add_nc_u32_e32 v90, 0x1e0, v84
	v_add_nc_u32_e32 v92, 0x3c0, v84
	s_wait_alu 0xfffd
	v_add_co_ci_u32_e32 v60, vcc_lo, s5, v60, vcc_lo
	v_add_co_u32 v79, vcc_lo, v42, v51
	v_mad_co_u64_u32 v[75:76], null, s16, v90, 0
	v_mad_co_u64_u32 v[77:78], null, s16, v92, 0
	s_wait_alu 0xfffd
	v_add_co_ci_u32_e32 v80, vcc_lo, v47, v52, vcc_lo
	s_wait_dscnt 0x0
	v_mad_co_u64_u32 v[51:52], null, s17, v83, v[49:50]
	v_mov_b32_e32 v49, v70
	v_mov_b32_e32 v53, v76
	v_mad_co_u64_u32 v[67:68], null, s16, v61, 0
	v_add_nc_u32_e32 v86, 0x3c0, v61
	s_delay_alu instid0(VALU_DEP_4) | instskip(SKIP_4) | instid1(VALU_DEP_4)
	v_mad_co_u64_u32 v[83:84], null, s17, v84, v[49:50]
	v_mov_b32_e32 v49, v78
	v_mad_co_u64_u32 v[90:91], null, s17, v90, v[53:54]
	v_mov_b32_e32 v38, v68
	v_mov_b32_e32 v66, v51
	v_mad_co_u64_u32 v[91:92], null, s17, v92, v[49:50]
	v_mov_b32_e32 v49, v89
	v_mad_co_u64_u32 v[73:74], null, s16, v86, 0
	v_add_nc_u32_e32 v85, 0x1e0, v61
	v_mad_co_u64_u32 v[61:62], null, s17, v61, v[38:39]
	v_mov_b32_e32 v70, v83
	v_lshlrev_b64_e32 v[63:64], 3, v[63:64]
	v_mov_b32_e32 v76, v90
	v_mov_b32_e32 v38, v74
	v_mad_co_u64_u32 v[71:72], null, s16, v85, 0
	v_mov_b32_e32 v68, v61
	v_mov_b32_e32 v78, v91
	v_add_co_u32 v63, s1, v42, v63
	s_wait_alu 0xf1fe
	v_add_co_ci_u32_e64 v64, s1, v47, v64, s1
	v_mov_b32_e32 v52, v72
	v_lshlrev_b64_e32 v[75:76], 3, v[75:76]
	v_lshlrev_b64_e32 v[77:78], 3, v[77:78]
	s_delay_alu instid0(VALU_DEP_3)
	v_mad_co_u64_u32 v[84:85], null, s17, v85, v[52:53]
	v_mad_co_u64_u32 v[85:86], null, s17, v86, v[38:39]
	;; [unrolled: 1-line block ×3, first 2 shown]
	global_load_b128 v[51:54], v[55:56], off offset:3760
	v_mov_b32_e32 v55, v82
	v_mad_co_u64_u32 v[82:83], null, s17, v97, v[49:50]
	v_mov_b32_e32 v72, v84
	v_mov_b32_e32 v74, v85
	;; [unrolled: 1-line block ×3, first 2 shown]
	v_mad_co_u64_u32 v[92:93], null, s17, v93, v[55:56]
	global_load_b128 v[55:58], v[57:58], off offset:3760
	v_mov_b32_e32 v89, v82
	v_mad_co_u64_u32 v[61:62], null, s17, v94, v[38:39]
	v_add_nc_u32_e32 v62, 0x3c0, v94
	v_lshlrev_b64_e32 v[65:66], 3, v[65:66]
	v_mov_b32_e32 v82, v92
	v_lshlrev_b64_e32 v[73:74], 3, v[73:74]
	s_delay_alu instid0(VALU_DEP_4)
	v_mad_co_u64_u32 v[93:94], null, s16, v62, 0
	v_mov_b32_e32 v87, v61
	v_add_nc_u32_e32 v61, 0x1e0, v97
	v_lshlrev_b64_e32 v[67:68], 3, v[67:68]
	v_add_co_u32 v65, s1, v42, v65
	s_wait_alu 0xf1ff
	v_add_co_ci_u32_e64 v66, s1, v47, v66, s1
	v_mad_co_u64_u32 v[83:84], null, s16, v61, 0
	v_mov_b32_e32 v38, v94
	v_add_co_u32 v67, s1, v42, v67
	s_wait_alu 0xf1ff
	v_add_co_ci_u32_e64 v68, s1, v47, v68, s1
	v_lshlrev_b64_e32 v[81:82], 3, v[81:82]
	v_mov_b32_e32 v49, v84
	v_mad_co_u64_u32 v[84:85], null, s17, v62, v[38:39]
	v_lshlrev_b64_e32 v[85:86], 3, v[86:87]
	v_lshlrev_b64_e32 v[87:88], 3, v[88:89]
	s_delay_alu instid0(VALU_DEP_4) | instskip(SKIP_3) | instid1(VALU_DEP_2)
	v_mad_co_u64_u32 v[95:96], null, s17, v61, v[49:50]
	global_load_b128 v[59:62], v[59:60], off offset:3760
	v_add_nc_u32_e32 v49, 0x3c0, v97
	v_lshlrev_b64_e32 v[69:70], 3, v[69:70]
	v_mad_co_u64_u32 v[90:91], null, s16, v49, 0
	s_delay_alu instid0(VALU_DEP_2) | instskip(SKIP_1) | instid1(VALU_DEP_3)
	v_add_co_u32 v69, s1, v42, v69
	s_wait_alu 0xf1ff
	v_add_co_ci_u32_e64 v70, s1, v47, v70, s1
	v_add_co_u32 v85, s1, v42, v85
	s_delay_alu instid0(VALU_DEP_4) | instskip(SKIP_3) | instid1(VALU_DEP_3)
	v_mov_b32_e32 v38, v91
	s_wait_alu 0xf1ff
	v_add_co_ci_u32_e64 v86, s1, v47, v86, s1
	v_add_co_u32 v87, s1, v42, v87
	v_mad_co_u64_u32 v[91:92], null, s17, v49, v[38:39]
	v_add_nc_u32_e32 v49, 0x1c2, v48
	v_lshlrev_b64_e32 v[71:72], 3, v[71:72]
	s_wait_alu 0xf1ff
	v_add_co_ci_u32_e64 v88, s1, v47, v88, s1
	s_delay_alu instid0(VALU_DEP_3) | instskip(SKIP_1) | instid1(VALU_DEP_4)
	v_cmp_gt_u32_e32 vcc_lo, 0x1e0, v49
	v_lshlrev_b64_e32 v[89:90], 3, v[90:91]
	v_add_co_u32 v71, s1, v42, v71
	s_wait_alu 0xf1ff
	v_add_co_ci_u32_e64 v72, s1, v47, v72, s1
	v_add_co_u32 v73, s1, v42, v73
	s_wait_alu 0xf1ff
	v_add_co_ci_u32_e64 v74, s1, v47, v74, s1
	;; [unrolled: 3-line block ×5, first 2 shown]
	s_wait_loadcnt 0x4
	v_mul_f32_e32 v38, v19, v5
	v_mul_f32_e32 v5, v33, v5
	s_delay_alu instid0(VALU_DEP_2) | instskip(NEXT) | instid1(VALU_DEP_2)
	v_fmac_f32_e32 v38, v33, v4
	v_fma_f32 v19, v19, v4, -v5
	v_mov_b32_e32 v94, v84
	v_mov_b32_e32 v84, v95
	s_delay_alu instid0(VALU_DEP_2) | instskip(NEXT) | instid1(VALU_DEP_2)
	v_lshlrev_b64_e32 v[92:93], 3, v[93:94]
	v_lshlrev_b64_e32 v[83:84], 3, v[83:84]
	s_delay_alu instid0(VALU_DEP_2) | instskip(SKIP_1) | instid1(VALU_DEP_3)
	v_add_co_u32 v91, s1, v42, v92
	s_wait_alu 0xf1ff
	v_add_co_ci_u32_e64 v92, s1, v47, v93, s1
	v_mul_f32_e32 v93, v28, v7
	v_mul_f32_e32 v7, v14, v7
	v_add_co_u32 v83, s1, v42, v83
	s_wait_alu 0xf1ff
	v_add_co_ci_u32_e64 v84, s1, v47, v84, s1
	s_delay_alu instid0(VALU_DEP_3) | instskip(SKIP_3) | instid1(VALU_DEP_4)
	v_fmac_f32_e32 v7, v28, v6
	v_fma_f32 v14, v14, v6, -v93
	v_add_f32_e32 v6, v24, v38
	v_add_co_u32 v4, s1, v42, v89
	v_add_f32_e32 v33, v38, v7
	v_sub_f32_e32 v38, v38, v7
	v_dual_add_f32 v28, v10, v19 :: v_dual_sub_f32 v93, v19, v14
	v_add_f32_e32 v19, v19, v14
	v_add_f32_e32 v7, v6, v7
	s_wait_alu 0xf1ff
	v_add_co_ci_u32_e64 v5, s1, v47, v90, s1
	v_add_f32_e32 v6, v28, v14
	s_wait_loadcnt 0x3
	v_mul_f32_e32 v14, v37, v1
	v_mul_f32_e32 v1, v23, v1
	v_fma_f32 v90, -0.5, v33, v24
	v_fma_f32 v89, -0.5, v19, v10
	s_delay_alu instid0(VALU_DEP_3) | instskip(SKIP_1) | instid1(VALU_DEP_2)
	v_dual_fmac_f32 v1, v37, v0 :: v_dual_mul_f32 v10, v50, v3
	v_mul_f32_e32 v3, v46, v3
	v_add_f32_e32 v33, v32, v1
	s_delay_alu instid0(VALU_DEP_3) | instskip(NEXT) | instid1(VALU_DEP_3)
	v_fma_f32 v10, v46, v2, -v10
	v_fmac_f32_e32 v3, v50, v2
	v_fma_f32 v2, v23, v0, -v14
	s_delay_alu instid0(VALU_DEP_1)
	v_sub_f32_e32 v24, v2, v10
	s_wait_loadcnt 0x2
	v_mul_f32_e32 v19, v22, v52
	global_store_b64 v[79:80], v[6:7], off
	v_fmamk_f32 v7, v93, 0x3f5db3d7, v90
	v_fmac_f32_e32 v90, 0xbf5db3d7, v93
	v_dual_mul_f32 v14, v35, v54 :: v_dual_fmac_f32 v19, v36, v51
	v_dual_mul_f32 v23, v21, v54 :: v_dual_fmamk_f32 v6, v38, 0xbf5db3d7, v89
	v_fmac_f32_e32 v89, 0x3f5db3d7, v38
	s_wait_loadcnt 0x1
	v_mul_f32_e32 v37, v20, v58
	s_delay_alu instid0(VALU_DEP_3)
	v_dual_mul_f32 v0, v36, v52 :: v_dual_fmac_f32 v23, v35, v53
	s_clause 0x1
	global_store_b64 v[63:64], v[89:90], off
	global_store_b64 v[65:66], v[6:7], off
	v_dual_add_f32 v6, v1, v3 :: v_dual_mul_f32 v35, v34, v58
	v_add_f32_e32 v7, v2, v10
	v_add_f32_e32 v2, v18, v2
	v_fma_f32 v22, v22, v51, -v0
	v_fma_f32 v21, v21, v53, -v14
	v_mul_f32_e32 v14, v31, v56
	v_mul_f32_e32 v36, v17, v56
	v_dual_sub_f32 v28, v1, v3 :: v_dual_fmac_f32 v37, v34, v57
	v_fma_f32 v1, -0.5, v6, v32
	v_fma_f32 v0, -0.5, v7, v18
	v_dual_add_f32 v3, v33, v3 :: v_dual_add_f32 v32, v22, v21
	v_dual_sub_f32 v33, v19, v23 :: v_dual_add_f32 v2, v2, v10
	s_delay_alu instid0(VALU_DEP_4)
	v_dual_fmamk_f32 v7, v24, 0x3f5db3d7, v1 :: v_dual_sub_f32 v10, v22, v21
	v_dual_fmac_f32 v1, 0xbf5db3d7, v24 :: v_dual_add_f32 v22, v13, v22
	v_add_f32_e32 v18, v19, v23
	v_add_f32_e32 v19, v27, v19
	v_fmac_f32_e32 v36, v31, v55
	v_fma_f32 v35, v20, v57, -v35
	s_wait_loadcnt 0x0
	v_mul_f32_e32 v31, v29, v62
	v_fma_f32 v38, v17, v55, -v14
	v_add_f32_e32 v17, v22, v21
	v_fma_f32 v14, -0.5, v18, v27
	v_add_f32_e32 v18, v19, v23
	s_delay_alu instid0(VALU_DEP_4)
	v_dual_mul_f32 v34, v16, v60 :: v_dual_add_f32 v21, v38, v35
	v_add_f32_e32 v23, v12, v38
	v_fma_f32 v13, -0.5, v32, v13
	v_mul_f32_e32 v20, v30, v60
	v_fma_f32 v27, v15, v61, -v31
	v_mul_f32_e32 v46, v15, v62
	s_delay_alu instid0(VALU_DEP_4)
	v_dual_fmamk_f32 v6, v28, 0xbf5db3d7, v0 :: v_dual_fmamk_f32 v15, v33, 0xbf5db3d7, v13
	v_add_f32_e32 v19, v36, v37
	v_fmac_f32_e32 v13, 0x3f5db3d7, v33
	v_fma_f32 v24, v16, v59, -v20
	v_sub_f32_e32 v50, v36, v37
	v_fmamk_f32 v16, v10, 0x3f5db3d7, v14
	v_fma_f32 v20, -0.5, v19, v26
	v_fma_f32 v19, -0.5, v21, v12
	v_add_f32_e32 v21, v23, v35
	v_fmac_f32_e32 v34, v30, v59
	v_dual_add_f32 v23, v24, v27 :: v_dual_fmac_f32 v46, v29, v61
	v_fmac_f32_e32 v0, 0x3f5db3d7, v28
	v_add_f32_e32 v28, v11, v24
	v_add_f32_e32 v22, v26, v36
	s_delay_alu instid0(VALU_DEP_4)
	v_fma_f32 v11, -0.5, v23, v11
	v_fmamk_f32 v23, v50, 0xbf5db3d7, v19
	v_fmac_f32_e32 v19, 0x3f5db3d7, v50
	v_add_f32_e32 v12, v34, v46
	v_add_f32_e32 v26, v25, v34
	v_fmac_f32_e32 v14, 0xbf5db3d7, v10
	v_dual_sub_f32 v10, v24, v27 :: v_dual_sub_f32 v29, v34, v46
	s_delay_alu instid0(VALU_DEP_4) | instskip(SKIP_2) | instid1(VALU_DEP_4)
	v_fma_f32 v12, -0.5, v12, v25
	v_add_f32_e32 v25, v28, v27
	v_sub_f32_e32 v32, v38, v35
	v_dual_add_f32 v26, v26, v46 :: v_dual_fmamk_f32 v27, v29, 0xbf5db3d7, v11
	s_delay_alu instid0(VALU_DEP_4)
	v_dual_fmac_f32 v11, 0x3f5db3d7, v29 :: v_dual_fmamk_f32 v28, v10, 0x3f5db3d7, v12
	v_fmac_f32_e32 v12, 0xbf5db3d7, v10
	v_add_f32_e32 v22, v22, v37
	v_fmamk_f32 v24, v32, 0x3f5db3d7, v20
	v_fmac_f32_e32 v20, 0xbf5db3d7, v32
	s_clause 0xb
	global_store_b64 v[67:68], v[25:26], off
	global_store_b64 v[71:72], v[11:12], off
	;; [unrolled: 1-line block ×12, first 2 shown]
	s_and_b32 exec_lo, exec_lo, vcc_lo
	s_cbranch_execz .LBB0_34
; %bb.33:
	v_add_nc_u32_e32 v14, 0x3a2, v48
	v_mad_co_u64_u32 v[4:5], null, s16, v49, 0
	v_subrev_nc_u32_e32 v0, 30, v48
	s_delay_alu instid0(VALU_DEP_3) | instskip(NEXT) | instid1(VALU_DEP_2)
	v_mad_co_u64_u32 v[6:7], null, s16, v14, 0
	v_cndmask_b32_e64 v0, v0, v43, s0
	s_delay_alu instid0(VALU_DEP_2) | instskip(NEXT) | instid1(VALU_DEP_2)
	v_mad_co_u64_u32 v[12:13], null, s17, v49, v[5:6]
	v_lshlrev_b32_e32 v38, 1, v0
	s_delay_alu instid0(VALU_DEP_4) | instskip(NEXT) | instid1(VALU_DEP_3)
	v_mad_co_u64_u32 v[13:14], null, s17, v14, v[7:8]
	v_mov_b32_e32 v5, v12
	s_delay_alu instid0(VALU_DEP_3) | instskip(NEXT) | instid1(VALU_DEP_3)
	v_lshlrev_b64_e32 v[0:1], 3, v[38:39]
	v_mov_b32_e32 v7, v13
	s_delay_alu instid0(VALU_DEP_3) | instskip(NEXT) | instid1(VALU_DEP_3)
	v_lshlrev_b64_e32 v[4:5], 3, v[4:5]
	v_add_co_u32 v0, vcc_lo, s4, v0
	s_wait_alu 0xfffd
	s_delay_alu instid0(VALU_DEP_4) | instskip(SKIP_1) | instid1(VALU_DEP_4)
	v_add_co_ci_u32_e32 v1, vcc_lo, s5, v1, vcc_lo
	v_lshlrev_b64_e32 v[6:7], 3, v[6:7]
	v_add_co_u32 v4, vcc_lo, v42, v4
	global_load_b128 v[0:3], v[0:1], off offset:3760
	v_add_nc_u32_e32 v15, 0x582, v48
	s_wait_alu 0xfffd
	v_add_co_ci_u32_e32 v5, vcc_lo, v47, v5, vcc_lo
	v_add_co_u32 v6, vcc_lo, v42, v6
	s_delay_alu instid0(VALU_DEP_3) | instskip(SKIP_2) | instid1(VALU_DEP_2)
	v_mad_co_u64_u32 v[10:11], null, s16, v15, 0
	s_wait_alu 0xfffd
	v_add_co_ci_u32_e32 v7, vcc_lo, v47, v7, vcc_lo
	v_mad_co_u64_u32 v[14:15], null, s17, v15, v[11:12]
	s_wait_loadcnt 0x0
	v_mul_f32_e32 v12, v45, v1
	v_mul_f32_e32 v13, v44, v1
	s_delay_alu instid0(VALU_DEP_2) | instskip(SKIP_2) | instid1(VALU_DEP_2)
	v_fma_f32 v12, v44, v0, -v12
	v_mul_f32_e32 v1, v41, v3
	v_mov_b32_e32 v11, v14
	v_fma_f32 v14, v40, v2, -v1
	v_mul_f32_e32 v3, v40, v3
	v_fmac_f32_e32 v13, v45, v0
	s_delay_alu instid0(VALU_DEP_2) | instskip(NEXT) | instid1(VALU_DEP_4)
	v_fmac_f32_e32 v3, v41, v2
	v_add_f32_e32 v2, v12, v14
	v_lshlrev_b64_e32 v[10:11], 3, v[10:11]
	s_delay_alu instid0(VALU_DEP_1) | instskip(SKIP_1) | instid1(VALU_DEP_4)
	v_add_co_u32 v0, vcc_lo, v42, v10
	v_add_f32_e32 v10, v8, v12
	v_fmac_f32_e32 v8, -0.5, v2
	v_dual_sub_f32 v12, v12, v14 :: v_dual_sub_f32 v15, v13, v3
	s_wait_alu 0xfffd
	v_add_co_ci_u32_e32 v1, vcc_lo, v47, v11, vcc_lo
	v_add_f32_e32 v2, v10, v14
	s_delay_alu instid0(VALU_DEP_3) | instskip(SKIP_1) | instid1(VALU_DEP_2)
	v_dual_fmamk_f32 v10, v15, 0x3f5db3d7, v8 :: v_dual_add_f32 v11, v13, v3
	v_dual_add_f32 v13, v9, v13 :: v_dual_fmac_f32 v8, 0xbf5db3d7, v15
	v_fmac_f32_e32 v9, -0.5, v11
	s_delay_alu instid0(VALU_DEP_2) | instskip(NEXT) | instid1(VALU_DEP_2)
	v_add_f32_e32 v3, v13, v3
	v_fmamk_f32 v11, v12, 0xbf5db3d7, v9
	v_fmac_f32_e32 v9, 0x3f5db3d7, v12
	s_clause 0x2
	global_store_b64 v[4:5], v[2:3], off
	global_store_b64 v[6:7], v[10:11], off
	;; [unrolled: 1-line block ×3, first 2 shown]
.LBB0_34:
	s_nop 0
	s_sendmsg sendmsg(MSG_DEALLOC_VGPRS)
	s_endpgm
	.section	.rodata,"a",@progbits
	.p2align	6, 0x0
	.amdhsa_kernel fft_rtc_fwd_len1440_factors_10_16_3_3_wgs_90_tpt_90_halfLds_sp_op_CI_CI_sbrr_dirReg
		.amdhsa_group_segment_fixed_size 0
		.amdhsa_private_segment_fixed_size 0
		.amdhsa_kernarg_size 104
		.amdhsa_user_sgpr_count 2
		.amdhsa_user_sgpr_dispatch_ptr 0
		.amdhsa_user_sgpr_queue_ptr 0
		.amdhsa_user_sgpr_kernarg_segment_ptr 1
		.amdhsa_user_sgpr_dispatch_id 0
		.amdhsa_user_sgpr_private_segment_size 0
		.amdhsa_wavefront_size32 1
		.amdhsa_uses_dynamic_stack 0
		.amdhsa_enable_private_segment 0
		.amdhsa_system_sgpr_workgroup_id_x 1
		.amdhsa_system_sgpr_workgroup_id_y 0
		.amdhsa_system_sgpr_workgroup_id_z 0
		.amdhsa_system_sgpr_workgroup_info 0
		.amdhsa_system_vgpr_workitem_id 0
		.amdhsa_next_free_vgpr 98
		.amdhsa_next_free_sgpr 43
		.amdhsa_reserve_vcc 1
		.amdhsa_float_round_mode_32 0
		.amdhsa_float_round_mode_16_64 0
		.amdhsa_float_denorm_mode_32 3
		.amdhsa_float_denorm_mode_16_64 3
		.amdhsa_fp16_overflow 0
		.amdhsa_workgroup_processor_mode 1
		.amdhsa_memory_ordered 1
		.amdhsa_forward_progress 0
		.amdhsa_round_robin_scheduling 0
		.amdhsa_exception_fp_ieee_invalid_op 0
		.amdhsa_exception_fp_denorm_src 0
		.amdhsa_exception_fp_ieee_div_zero 0
		.amdhsa_exception_fp_ieee_overflow 0
		.amdhsa_exception_fp_ieee_underflow 0
		.amdhsa_exception_fp_ieee_inexact 0
		.amdhsa_exception_int_div_zero 0
	.end_amdhsa_kernel
	.text
.Lfunc_end0:
	.size	fft_rtc_fwd_len1440_factors_10_16_3_3_wgs_90_tpt_90_halfLds_sp_op_CI_CI_sbrr_dirReg, .Lfunc_end0-fft_rtc_fwd_len1440_factors_10_16_3_3_wgs_90_tpt_90_halfLds_sp_op_CI_CI_sbrr_dirReg
                                        ; -- End function
	.section	.AMDGPU.csdata,"",@progbits
; Kernel info:
; codeLenInByte = 12148
; NumSgprs: 45
; NumVgprs: 98
; ScratchSize: 0
; MemoryBound: 0
; FloatMode: 240
; IeeeMode: 1
; LDSByteSize: 0 bytes/workgroup (compile time only)
; SGPRBlocks: 5
; VGPRBlocks: 12
; NumSGPRsForWavesPerEU: 45
; NumVGPRsForWavesPerEU: 98
; Occupancy: 12
; WaveLimiterHint : 1
; COMPUTE_PGM_RSRC2:SCRATCH_EN: 0
; COMPUTE_PGM_RSRC2:USER_SGPR: 2
; COMPUTE_PGM_RSRC2:TRAP_HANDLER: 0
; COMPUTE_PGM_RSRC2:TGID_X_EN: 1
; COMPUTE_PGM_RSRC2:TGID_Y_EN: 0
; COMPUTE_PGM_RSRC2:TGID_Z_EN: 0
; COMPUTE_PGM_RSRC2:TIDIG_COMP_CNT: 0
	.text
	.p2alignl 7, 3214868480
	.fill 96, 4, 3214868480
	.type	__hip_cuid_a938d0100f9de9a0,@object ; @__hip_cuid_a938d0100f9de9a0
	.section	.bss,"aw",@nobits
	.globl	__hip_cuid_a938d0100f9de9a0
__hip_cuid_a938d0100f9de9a0:
	.byte	0                               ; 0x0
	.size	__hip_cuid_a938d0100f9de9a0, 1

	.ident	"AMD clang version 19.0.0git (https://github.com/RadeonOpenCompute/llvm-project roc-6.4.0 25133 c7fe45cf4b819c5991fe208aaa96edf142730f1d)"
	.section	".note.GNU-stack","",@progbits
	.addrsig
	.addrsig_sym __hip_cuid_a938d0100f9de9a0
	.amdgpu_metadata
---
amdhsa.kernels:
  - .args:
      - .actual_access:  read_only
        .address_space:  global
        .offset:         0
        .size:           8
        .value_kind:     global_buffer
      - .offset:         8
        .size:           8
        .value_kind:     by_value
      - .actual_access:  read_only
        .address_space:  global
        .offset:         16
        .size:           8
        .value_kind:     global_buffer
      - .actual_access:  read_only
        .address_space:  global
        .offset:         24
        .size:           8
        .value_kind:     global_buffer
      - .actual_access:  read_only
        .address_space:  global
        .offset:         32
        .size:           8
        .value_kind:     global_buffer
      - .offset:         40
        .size:           8
        .value_kind:     by_value
      - .actual_access:  read_only
        .address_space:  global
        .offset:         48
        .size:           8
        .value_kind:     global_buffer
      - .actual_access:  read_only
        .address_space:  global
        .offset:         56
        .size:           8
        .value_kind:     global_buffer
      - .offset:         64
        .size:           4
        .value_kind:     by_value
      - .actual_access:  read_only
        .address_space:  global
        .offset:         72
        .size:           8
        .value_kind:     global_buffer
      - .actual_access:  read_only
        .address_space:  global
        .offset:         80
        .size:           8
        .value_kind:     global_buffer
      - .actual_access:  read_only
        .address_space:  global
        .offset:         88
        .size:           8
        .value_kind:     global_buffer
      - .actual_access:  write_only
        .address_space:  global
        .offset:         96
        .size:           8
        .value_kind:     global_buffer
    .group_segment_fixed_size: 0
    .kernarg_segment_align: 8
    .kernarg_segment_size: 104
    .language:       OpenCL C
    .language_version:
      - 2
      - 0
    .max_flat_workgroup_size: 90
    .name:           fft_rtc_fwd_len1440_factors_10_16_3_3_wgs_90_tpt_90_halfLds_sp_op_CI_CI_sbrr_dirReg
    .private_segment_fixed_size: 0
    .sgpr_count:     45
    .sgpr_spill_count: 0
    .symbol:         fft_rtc_fwd_len1440_factors_10_16_3_3_wgs_90_tpt_90_halfLds_sp_op_CI_CI_sbrr_dirReg.kd
    .uniform_work_group_size: 1
    .uses_dynamic_stack: false
    .vgpr_count:     98
    .vgpr_spill_count: 0
    .wavefront_size: 32
    .workgroup_processor_mode: 1
amdhsa.target:   amdgcn-amd-amdhsa--gfx1201
amdhsa.version:
  - 1
  - 2
...

	.end_amdgpu_metadata
